;; amdgpu-corpus repo=pytorch/pytorch kind=compiled arch=gfx90a opt=O3
	.text
	.amdgcn_target "amdgcn-amd-amdhsa--gfx90a"
	.amdhsa_code_object_version 6
	.p2align	2                               ; -- Begin function _Z17bessel_j1_forwardIdET_S0_
	.type	_Z17bessel_j1_forwardIdET_S0_,@function
_Z17bessel_j1_forwardIdET_S0_:          ; @_Z17bessel_j1_forwardIdET_S0_
; %bb.0:
	s_waitcnt vmcnt(0) expcnt(0) lgkmcnt(0)
	s_mov_b32 s4, s33
	s_mov_b32 s33, s32
	s_or_saveexec_b64 s[6:7], -1
	buffer_store_dword v40, off, s[0:3], s33 ; 4-byte Folded Spill
	s_mov_b64 exec, s[6:7]
	v_writelane_b32 v40, s4, 4
	s_addk_i32 s32, 0x400
	v_writelane_b32 v40, s34, 0
	v_writelane_b32 v40, s35, 1
	;; [unrolled: 1-line block ×4, first 2 shown]
	v_cmp_ngt_f64_e32 vcc, 0, v[0:1]
                                        ; implicit-def: $vgpr2_vgpr3
	s_and_saveexec_b64 s[4:5], vcc
	s_xor_b64 s[6:7], exec, s[4:5]
	s_cbranch_execz .LBB0_14
; %bb.1:
	s_mov_b32 s4, 0
	s_mov_b32 s5, 0x40140000
	v_cmp_ge_f64_e32 vcc, s[4:5], v[0:1]
                                        ; implicit-def: $vgpr2_vgpr3
	s_and_saveexec_b64 s[4:5], vcc
	s_xor_b64 s[4:5], exec, s[4:5]
	s_cbranch_execz .LBB0_3
; %bb.2:
	v_mul_f64 v[2:3], v[0:1], v[0:1]
	v_mov_b32_e32 v4, 0x4cda4fc5
	v_mov_b32_e32 v5, 0xc1cad23c
	v_fmac_f64_e32 v[4:5], 0, v[2:3]
	v_mov_b32_e32 v6, 0xd438c6b
	v_mov_b32_e32 v7, 0x425a52ba
	v_fmac_f64_e32 v[6:7], v[2:3], v[4:5]
	v_mov_b32_e32 v4, 0xe6ccf175
	v_mov_b32_e32 v5, 0xc2d08a92
	v_fmac_f64_e32 v[4:5], v[2:3], v[6:7]
	v_mov_b32_e32 v6, 0x1b7086e7
	v_mov_b32_e32 v7, 0x408366b1
	v_fmac_f64_e32 v[6:7], 0, v[2:3]
	v_mov_b32_e32 v8, 0xdd701b2
	v_mov_b32_e32 v9, 0x410f5eda
	v_fmac_f64_e32 v[8:9], v[2:3], v[6:7]
	v_mov_b32_e32 v6, 0xdc92a1b1
	v_mov_b32_e32 v7, 0x4193e954
	v_fmac_f64_e32 v[6:7], v[2:3], v[8:9]
	v_mov_b32_e32 v8, 0x7befeac1
	v_mov_b32_e32 v9, 0x4214a13f
	v_fmac_f64_e32 v[8:9], v[2:3], v[6:7]
	v_mov_b32_e32 v6, 0x8076ffa8
	v_mov_b32_e32 v7, 0x429146fb
	v_fmac_f64_e32 v[6:7], v[2:3], v[8:9]
	v_mov_b32_e32 v8, 0x3eccf45f
	v_mov_b32_e32 v9, 0x43064b0a
	v_fmac_f64_e32 v[8:9], v[2:3], v[6:7]
	v_mov_b32_e32 v6, 0xf4653f81
	v_mov_b32_e32 v7, 0x4373e0bf
	v_fmac_f64_e32 v[6:7], v[2:3], v[8:9]
	v_mov_b32_e32 v8, 0x76702939
	v_mov_b32_e32 v9, 0x43d27795
	v_fmac_f64_e32 v[8:9], v[2:3], v[6:7]
	v_mov_b32_e32 v6, 0xa697c482
	v_mov_b32_e32 v7, 0x432a2b42
	v_fmac_f64_e32 v[6:7], v[2:3], v[4:5]
	v_div_scale_f64 v[2:3], s[8:9], v[8:9], v[8:9], v[6:7]
	v_rcp_f64_e32 v[4:5], v[2:3]
	v_fma_f64 v[10:11], -v[2:3], v[4:5], 1.0
	v_fmac_f64_e32 v[4:5], v[4:5], v[10:11]
	v_fma_f64 v[10:11], -v[2:3], v[4:5], 1.0
	v_fmac_f64_e32 v[4:5], v[4:5], v[10:11]
	v_div_scale_f64 v[10:11], vcc, v[6:7], v[8:9], v[6:7]
	v_mul_f64 v[12:13], v[10:11], v[4:5]
	v_fma_f64 v[2:3], -v[2:3], v[12:13], v[10:11]
	s_nop 1
	v_div_fmas_f64 v[2:3], v[2:3], v[4:5], v[12:13]
	v_div_fixup_f64 v[2:3], v[2:3], v[8:9], v[6:7]
	v_mov_b32_e32 v4, 0x4189822c
	v_mov_b32_e32 v5, 0xc02d5d2b
	v_mul_f64 v[2:3], v[2:3], v[0:1]
	v_fmac_f64_e32 v[4:5], v[0:1], v[0:1]
	v_mul_f64 v[2:3], v[4:5], v[2:3]
	v_mov_b32_e32 v4, 0x6072a432
	v_mov_b32_e32 v5, 0xc0489bf6
	v_fmac_f64_e32 v[4:5], v[0:1], v[0:1]
	v_mul_f64 v[2:3], v[4:5], v[2:3]
                                        ; implicit-def: $vgpr0_vgpr1
.LBB0_3:
	s_andn2_saveexec_b64 s[8:9], s[4:5]
	s_cbranch_execz .LBB0_13
; %bb.4:
	s_mov_b32 s4, 0x7f3321d2
	s_mov_b32 s5, 0xc002d97c
	v_add_f64 v[2:3], v[0:1], s[4:5]
	s_mov_b32 s4, 0
	s_mov_b32 s5, 0x41d00000
	v_cmp_nlt_f64_e64 s[10:11], |v[2:3]|, s[4:5]
	v_trig_preop_f64 v[16:17], |v[2:3]|, 0
	v_trig_preop_f64 v[14:15], |v[2:3]|, 1
	;; [unrolled: 1-line block ×3, first 2 shown]
                                        ; implicit-def: $vgpr18
                                        ; implicit-def: $vgpr4_vgpr5
                                        ; implicit-def: $vgpr6_vgpr7
	s_and_saveexec_b64 s[4:5], s[10:11]
	s_xor_b64 s[12:13], exec, s[4:5]
	s_cbranch_execz .LBB0_6
; %bb.5:
	s_mov_b32 s4, 0
	s_mov_b32 s5, 0x7b000000
	s_movk_i32 s14, 0xff80
	v_and_b32_e32 v6, 0x7fffffff, v3
	v_ldexp_f64 v[4:5], |v[2:3]|, s14
	v_cmp_ge_f64_e64 vcc, |v[2:3]|, s[4:5]
	v_cndmask_b32_e32 v5, v6, v5, vcc
	v_cndmask_b32_e32 v4, v2, v4, vcc
	v_mul_f64 v[8:9], v[16:17], v[4:5]
	v_mul_f64 v[6:7], v[14:15], v[4:5]
	v_fma_f64 v[10:11], v[16:17], v[4:5], -v[8:9]
	v_add_f64 v[18:19], v[6:7], v[10:11]
	v_add_f64 v[20:21], v[8:9], v[18:19]
	s_mov_b32 s4, 0
	v_ldexp_f64 v[22:23], v[20:21], -2
	s_mov_b32 s5, 0x7ff00000
	v_fract_f64_e32 v[24:25], v[22:23]
	v_cmp_neq_f64_e64 vcc, |v[22:23]|, s[4:5]
	v_cndmask_b32_e32 v23, 0, v25, vcc
	v_cndmask_b32_e32 v22, 0, v24, vcc
	v_add_f64 v[24:25], v[18:19], -v[6:7]
	v_add_f64 v[10:11], v[10:11], -v[24:25]
	;; [unrolled: 1-line block ×4, first 2 shown]
	v_add_f64 v[10:11], v[10:11], v[24:25]
	v_fma_f64 v[6:7], v[14:15], v[4:5], -v[6:7]
	v_mul_f64 v[24:25], v[12:13], v[4:5]
	v_add_f64 v[28:29], v[24:25], v[6:7]
	v_add_f64 v[30:31], v[28:29], v[10:11]
	v_add_f64 v[8:9], v[20:21], -v[8:9]
	v_add_f64 v[20:21], v[30:31], -v[28:29]
	;; [unrolled: 1-line block ×5, first 2 shown]
	v_add_f64 v[10:11], v[10:11], v[20:21]
	v_add_f64 v[20:21], v[28:29], -v[24:25]
	v_add_f64 v[6:7], v[6:7], -v[20:21]
	;; [unrolled: 1-line block ×5, first 2 shown]
	v_add_f64 v[18:19], v[8:9], v[30:31]
	v_add_f64 v[6:7], v[6:7], v[20:21]
	v_add_f64 v[8:9], v[18:19], -v[8:9]
	v_add_f64 v[6:7], v[6:7], v[10:11]
	v_fma_f64 v[4:5], v[12:13], v[4:5], -v[24:25]
	v_add_f64 v[8:9], v[30:31], -v[8:9]
	v_add_f64 v[4:5], v[4:5], v[6:7]
	v_ldexp_f64 v[6:7], v[22:23], 2
	v_add_f64 v[4:5], v[8:9], v[4:5]
	v_add_f64 v[8:9], v[18:19], v[6:7]
	v_mov_b32_e32 v10, 0x40100000
	v_cmp_gt_f64_e32 vcc, 0, v[8:9]
	v_mov_b32_e32 v26, 0
	v_cndmask_b32_e32 v27, 0, v10, vcc
	v_add_f64 v[6:7], v[6:7], v[26:27]
	v_add_f64 v[8:9], v[18:19], v[6:7]
	v_cvt_i32_f64_e32 v10, v[8:9]
	v_cvt_f64_i32_e32 v[8:9], v10
	v_add_f64 v[6:7], v[6:7], -v[8:9]
	v_add_f64 v[8:9], v[18:19], v[6:7]
	v_add_f64 v[6:7], v[8:9], -v[6:7]
	v_add_f64 v[6:7], v[18:19], -v[6:7]
	v_add_f64 v[4:5], v[4:5], v[6:7]
	v_cmp_le_f64_e32 vcc, 0.5, v[8:9]
	v_mov_b32_e32 v6, 0x3ff00000
	v_cndmask_b32_e32 v27, 0, v6, vcc
	v_addc_co_u32_e64 v18, s[4:5], 0, v10, vcc
	v_add_f64 v[6:7], v[8:9], -v[26:27]
	v_add_f64 v[8:9], v[6:7], v[4:5]
	s_mov_b32 s4, 0x54442d18
	v_add_f64 v[6:7], v[8:9], -v[6:7]
	s_mov_b32 s5, 0x3ff921fb
	v_add_f64 v[4:5], v[4:5], -v[6:7]
	v_mul_f64 v[6:7], v[8:9], s[4:5]
	s_mov_b32 s14, 0x33145c07
	v_fma_f64 v[10:11], v[8:9], s[4:5], -v[6:7]
	s_mov_b32 s15, 0x3c91a626
	v_fmac_f64_e32 v[10:11], s[14:15], v[8:9]
	v_fmac_f64_e32 v[10:11], s[4:5], v[4:5]
	v_add_f64 v[4:5], v[6:7], v[10:11]
	v_add_f64 v[6:7], v[4:5], -v[6:7]
	v_add_f64 v[6:7], v[10:11], -v[6:7]
	s_andn2_saveexec_b64 s[4:5], s[12:13]
	s_cbranch_execz .LBB0_8
	s_branch .LBB0_7
.LBB0_6:
	s_andn2_saveexec_b64 s[4:5], s[12:13]
	s_cbranch_execz .LBB0_8
.LBB0_7:
	s_mov_b32 s12, 0x6dc9c883
	s_mov_b32 s13, 0x3fe45f30
	v_mul_f64 v[4:5], |v[2:3]|, s[12:13]
	s_mov_b32 s12, 0x54442d18
	v_rndne_f64_e32 v[8:9], v[4:5]
	s_mov_b32 s13, 0xbff921fb
	v_fma_f64 v[4:5], v[8:9], s[12:13], |v[2:3]|
	s_mov_b32 s13, 0xbc91a626
	s_mov_b32 s12, 0x33145c00
	v_mul_f64 v[10:11], v[8:9], s[12:13]
	v_add_f64 v[20:21], v[4:5], v[10:11]
	v_fma_f64 v[6:7], s[12:13], v[8:9], v[4:5]
	s_mov_b32 s13, 0x3c91a626
	v_add_f64 v[4:5], v[4:5], -v[20:21]
	v_fma_f64 v[18:19], s[12:13], v[8:9], v[10:11]
	v_add_f64 v[4:5], v[4:5], v[10:11]
	v_add_f64 v[10:11], v[20:21], -v[6:7]
	v_add_f64 v[4:5], v[10:11], v[4:5]
	s_mov_b32 s12, 0x252049c0
	v_add_f64 v[10:11], v[4:5], -v[18:19]
	s_mov_b32 s13, 0xb97b839a
	v_fmac_f64_e32 v[10:11], s[12:13], v[8:9]
	v_add_f64 v[4:5], v[6:7], v[10:11]
	v_add_f64 v[6:7], v[4:5], -v[6:7]
	v_add_f64 v[6:7], v[10:11], -v[6:7]
	v_cvt_i32_f64_e32 v18, v[8:9]
.LBB0_8:
	s_or_b64 exec, exec, s[4:5]
                                        ; implicit-def: $vgpr19
                                        ; implicit-def: $vgpr8_vgpr9
                                        ; implicit-def: $vgpr10_vgpr11
	s_and_saveexec_b64 s[4:5], s[10:11]
	s_xor_b64 s[10:11], exec, s[4:5]
	s_cbranch_execz .LBB0_10
; %bb.9:
	s_mov_b32 s4, 0
	s_mov_b32 s5, 0x7b000000
	s_movk_i32 s12, 0xff80
	v_and_b32_e32 v10, 0x7fffffff, v3
	v_ldexp_f64 v[8:9], |v[2:3]|, s12
	v_cmp_ge_f64_e64 vcc, |v[2:3]|, s[4:5]
	v_cndmask_b32_e32 v9, v10, v9, vcc
	v_cndmask_b32_e32 v8, v2, v8, vcc
	v_mul_f64 v[20:21], v[16:17], v[8:9]
	v_mul_f64 v[10:11], v[14:15], v[8:9]
	v_fma_f64 v[16:17], v[16:17], v[8:9], -v[20:21]
	v_add_f64 v[22:23], v[10:11], v[16:17]
	v_add_f64 v[24:25], v[20:21], v[22:23]
	s_mov_b32 s4, 0
	v_ldexp_f64 v[26:27], v[24:25], -2
	s_mov_b32 s5, 0x7ff00000
	v_fract_f64_e32 v[28:29], v[26:27]
	v_cmp_neq_f64_e64 vcc, |v[26:27]|, s[4:5]
	v_cndmask_b32_e32 v27, 0, v29, vcc
	v_cndmask_b32_e32 v26, 0, v28, vcc
	v_add_f64 v[28:29], v[22:23], -v[10:11]
	v_add_f64 v[16:17], v[16:17], -v[28:29]
	;; [unrolled: 1-line block ×4, first 2 shown]
	v_fma_f64 v[10:11], v[14:15], v[8:9], -v[10:11]
	v_mul_f64 v[14:15], v[12:13], v[8:9]
	v_add_f64 v[16:17], v[16:17], v[28:29]
	v_add_f64 v[28:29], v[14:15], v[10:11]
	;; [unrolled: 1-line block ×3, first 2 shown]
	v_add_f64 v[20:21], v[24:25], -v[20:21]
	v_add_f64 v[24:25], v[32:33], -v[28:29]
	v_add_f64 v[16:17], v[16:17], -v[24:25]
	v_add_f64 v[24:25], v[32:33], -v[24:25]
	v_add_f64 v[24:25], v[28:29], -v[24:25]
	v_add_f64 v[16:17], v[16:17], v[24:25]
	v_add_f64 v[24:25], v[28:29], -v[14:15]
	v_add_f64 v[10:11], v[10:11], -v[24:25]
	;; [unrolled: 1-line block ×4, first 2 shown]
	v_add_f64 v[10:11], v[10:11], v[24:25]
	v_add_f64 v[20:21], v[22:23], -v[20:21]
	v_add_f64 v[10:11], v[10:11], v[16:17]
	v_fma_f64 v[8:9], v[12:13], v[8:9], -v[14:15]
	v_add_f64 v[22:23], v[20:21], v[32:33]
	v_add_f64 v[8:9], v[8:9], v[10:11]
	v_ldexp_f64 v[10:11], v[26:27], 2
	v_add_f64 v[12:13], v[22:23], v[10:11]
	v_mov_b32_e32 v14, 0x40100000
	v_cmp_gt_f64_e32 vcc, 0, v[12:13]
	v_mov_b32_e32 v30, 0
	v_cndmask_b32_e32 v31, 0, v14, vcc
	v_add_f64 v[10:11], v[10:11], v[30:31]
	v_add_f64 v[12:13], v[22:23], v[10:11]
	v_cvt_i32_f64_e32 v14, v[12:13]
	v_cvt_f64_i32_e32 v[12:13], v14
	v_add_f64 v[10:11], v[10:11], -v[12:13]
	v_add_f64 v[20:21], v[22:23], -v[20:21]
	v_add_f64 v[12:13], v[22:23], v[10:11]
	v_add_f64 v[20:21], v[32:33], -v[20:21]
	v_add_f64 v[10:11], v[12:13], -v[10:11]
	v_add_f64 v[8:9], v[20:21], v[8:9]
	v_add_f64 v[10:11], v[22:23], -v[10:11]
	v_add_f64 v[8:9], v[8:9], v[10:11]
	v_cmp_le_f64_e32 vcc, 0.5, v[12:13]
	v_mov_b32_e32 v10, 0x3ff00000
	v_cndmask_b32_e32 v31, 0, v10, vcc
	v_addc_co_u32_e64 v19, s[4:5], 0, v14, vcc
	v_add_f64 v[10:11], v[12:13], -v[30:31]
	v_add_f64 v[12:13], v[10:11], v[8:9]
	s_mov_b32 s4, 0x54442d18
	v_add_f64 v[10:11], v[12:13], -v[10:11]
	s_mov_b32 s5, 0x3ff921fb
	v_add_f64 v[8:9], v[8:9], -v[10:11]
	v_mul_f64 v[10:11], v[12:13], s[4:5]
	s_mov_b32 s12, 0x33145c07
	v_fma_f64 v[14:15], v[12:13], s[4:5], -v[10:11]
	s_mov_b32 s13, 0x3c91a626
	v_fmac_f64_e32 v[14:15], s[12:13], v[12:13]
	v_fmac_f64_e32 v[14:15], s[4:5], v[8:9]
	v_add_f64 v[8:9], v[10:11], v[14:15]
	v_add_f64 v[10:11], v[8:9], -v[10:11]
	v_add_f64 v[10:11], v[14:15], -v[10:11]
	s_andn2_saveexec_b64 s[4:5], s[10:11]
	s_cbranch_execnz .LBB0_11
	s_branch .LBB0_12
.LBB0_10:
	s_andn2_saveexec_b64 s[4:5], s[10:11]
	s_cbranch_execz .LBB0_12
.LBB0_11:
	s_mov_b32 s10, 0x6dc9c883
	s_mov_b32 s11, 0x3fe45f30
	v_mul_f64 v[8:9], |v[2:3]|, s[10:11]
	s_mov_b32 s10, 0x54442d18
	v_rndne_f64_e32 v[12:13], v[8:9]
	s_mov_b32 s11, 0xbff921fb
	v_fma_f64 v[8:9], v[12:13], s[10:11], |v[2:3]|
	s_mov_b32 s11, 0xbc91a626
	s_mov_b32 s10, 0x33145c00
	v_mul_f64 v[14:15], v[12:13], s[10:11]
	v_add_f64 v[20:21], v[8:9], v[14:15]
	v_fma_f64 v[10:11], s[10:11], v[12:13], v[8:9]
	s_mov_b32 s11, 0x3c91a626
	v_add_f64 v[8:9], v[8:9], -v[20:21]
	v_fma_f64 v[16:17], s[10:11], v[12:13], v[14:15]
	v_add_f64 v[8:9], v[8:9], v[14:15]
	v_add_f64 v[14:15], v[20:21], -v[10:11]
	v_add_f64 v[8:9], v[14:15], v[8:9]
	s_mov_b32 s10, 0x252049c0
	v_add_f64 v[14:15], v[8:9], -v[16:17]
	s_mov_b32 s11, 0xb97b839a
	v_fmac_f64_e32 v[14:15], s[10:11], v[12:13]
	v_add_f64 v[8:9], v[10:11], v[14:15]
	v_add_f64 v[10:11], v[8:9], -v[10:11]
	v_add_f64 v[10:11], v[14:15], -v[10:11]
	v_cvt_i32_f64_e32 v19, v[12:13]
.LBB0_12:
	s_or_b64 exec, exec, s[4:5]
	s_mov_b32 s4, 0
	s_mov_b32 s5, 0x40140000
	v_div_scale_f64 v[12:13], s[10:11], v[0:1], v[0:1], s[4:5]
	v_rcp_f64_e32 v[14:15], v[12:13]
	v_mov_b32_e32 v22, 0x5948aa83
	v_mov_b32_e32 v23, 0x3fb19fdd
	;; [unrolled: 1-line block ×3, first 2 shown]
	v_fma_f64 v[16:17], -v[12:13], v[14:15], 1.0
	v_fmac_f64_e32 v[14:15], v[14:15], v[16:17]
	v_fma_f64 v[16:17], -v[12:13], v[14:15], 1.0
	v_fmac_f64_e32 v[14:15], v[14:15], v[16:17]
	v_div_scale_f64 v[16:17], vcc, s[4:5], v[0:1], s[4:5]
	v_mul_f64 v[20:21], v[16:17], v[14:15]
	v_fma_f64 v[12:13], -v[12:13], v[20:21], v[16:17]
	v_mov_b32_e32 v16, 0x4c6c651b
	s_nop 0
	v_div_fmas_f64 v[12:13], v[12:13], v[14:15], v[20:21]
	v_div_fixup_f64 v[12:13], v[12:13], v[0:1], s[4:5]
	v_mul_f64 v[14:15], v[12:13], v[12:13]
	v_mov_b32_e32 v17, 0x3f48f92c
	v_fmac_f64_e32 v[16:17], 0, v[14:15]
	v_mov_b32_e32 v20, 0xa3fec4b6
	v_mov_b32_e32 v21, 0x3fb2b948
	v_fmac_f64_e32 v[20:21], v[14:15], v[16:17]
	v_mov_b32_e32 v16, 0xc21596d6
	;; [unrolled: 3-line block ×6, first 2 shown]
	v_mov_b32_e32 v17, 0x3f42b89b
	v_fmac_f64_e32 v[16:17], 0, v[14:15]
	v_fmac_f64_e32 v[22:23], v[14:15], v[16:17]
	v_mov_b32_e32 v16, 0xb850eed6
	v_mov_b32_e32 v17, 0x3ff1aea9
	v_fmac_f64_e32 v[16:17], v[14:15], v[22:23]
	v_mov_b32_e32 v22, 0xf7d251a1
	v_mov_b32_e32 v23, 0x40144ba2
	;; [unrolled: 3-line block ×4, first 2 shown]
	v_fmac_f64_e32 v[22:23], v[14:15], v[16:17]
	v_fma_f64 v[16:17], v[14:15], v[22:23], 1.0
	v_mov_b32_e32 v22, 0x6b70ba40
	v_mov_b32_e32 v23, 0x3faa27fa
	v_fmac_f64_e32 v[22:23], 0, v[14:15]
	v_mov_b32_e32 v25, 0x4013edb5
	v_fmac_f64_e32 v[24:25], v[14:15], v[22:23]
	v_mov_b32_e32 v22, 0x9acf1c67
	v_mov_b32_e32 v23, 0x4052f4b9
	v_fmac_f64_e32 v[22:23], v[14:15], v[24:25]
	v_mov_b32_e32 v24, 0x47aa180d
	;; [unrolled: 3-line block ×12, first 2 shown]
	v_mov_b32_e32 v27, 0x40a61462
	v_fma_f64 v[20:21], v[14:15], v[20:21], 1.0
	v_fmac_f64_e32 v[26:27], v[14:15], v[22:23]
	v_div_scale_f64 v[22:23], s[4:5], v[16:17], v[16:17], v[20:21]
	v_rcp_f64_e32 v[28:29], v[22:23]
	v_mov_b32_e32 v30, 0x6ae75997
	v_mov_b32_e32 v31, 0x4075017f
	v_fmac_f64_e32 v[30:31], v[14:15], v[26:27]
	v_fma_f64 v[14:15], -v[22:23], v[28:29], 1.0
	v_fmac_f64_e32 v[28:29], v[28:29], v[14:15]
	v_fma_f64 v[14:15], -v[22:23], v[28:29], 1.0
	v_fmac_f64_e32 v[28:29], v[28:29], v[14:15]
	v_div_scale_f64 v[14:15], vcc, v[20:21], v[16:17], v[20:21]
	v_mul_f64 v[26:27], v[14:15], v[28:29]
	v_fma_f64 v[14:15], -v[22:23], v[26:27], v[14:15]
	s_mov_b32 s4, 0x9037ab78
	s_nop 0
	v_div_fmas_f64 v[14:15], v[14:15], v[28:29], v[26:27]
	s_mov_b32 s5, 0x3e21eeb6
	s_mov_b32 s10, 0x46cc5e42
	v_div_fixup_f64 v[14:15], v[14:15], v[16:17], v[20:21]
	v_mul_f64 v[16:17], v[4:5], v[4:5]
	s_mov_b32 s11, 0xbda907db
	v_pk_mov_b32 v[28:29], s[4:5], s[4:5] op_sel:[0,1]
	s_mov_b32 s12, 0xa17f65f6
	v_mul_f64 v[20:21], v[16:17], 0.5
	v_fma_f64 v[32:33], s[10:11], v[16:17], v[28:29]
	s_mov_b32 s13, 0xbe927e4f
	s_mov_b32 s14, 0x19f4ec90
	v_add_f64 v[22:23], -v[20:21], 1.0
	v_fma_f64 v[32:33], v[16:17], v[32:33], s[12:13]
	s_mov_b32 s15, 0x3efa01a0
	s_mov_b32 s16, 0x16c16967
	v_add_f64 v[26:27], -v[22:23], 1.0
	v_fma_f64 v[32:33], v[16:17], v[32:33], s[14:15]
	s_mov_b32 s17, 0xbf56c16c
	s_mov_b32 s18, 0x55555555
	v_add_f64 v[20:21], v[26:27], -v[20:21]
	v_fma_f64 v[32:33], v[16:17], v[32:33], s[16:17]
	s_mov_b32 s19, 0x3fa55555
	v_mul_f64 v[26:27], v[16:17], v[16:17]
	v_fma_f64 v[32:33], v[16:17], v[32:33], s[18:19]
	v_fma_f64 v[20:21], v[4:5], -v[6:7], v[20:21]
	s_mov_b32 s4, 0xb42fdfa7
	v_fmac_f64_e32 v[20:21], v[26:27], v[32:33]
	s_mov_b32 s5, 0xbe5ae600
	s_mov_b32 s20, 0xf9a43bb8
	v_add_f64 v[20:21], v[22:23], v[20:21]
	s_mov_b32 s21, 0x3de5e0b2
	v_pk_mov_b32 v[22:23], s[4:5], s[4:5] op_sel:[0,1]
	s_mov_b32 s22, 0x796cde01
	v_fma_f64 v[26:27], s[20:21], v[16:17], v[22:23]
	s_mov_b32 s23, 0x3ec71de3
	s_mov_b32 s24, 0x19e83e5c
	v_fma_f64 v[26:27], v[16:17], v[26:27], s[22:23]
	s_mov_b32 s25, 0xbf2a01a0
	;; [unrolled: 3-line block ×3, first 2 shown]
	v_fma_f64 v[26:27], v[16:17], v[26:27], s[26:27]
	v_mul_f64 v[32:33], v[4:5], -v[16:17]
	v_mul_f64 v[34:35], v[6:7], 0.5
	v_fmac_f64_e32 v[34:35], v[32:33], v[26:27]
	v_fma_f64 v[6:7], v[16:17], v[34:35], -v[6:7]
	s_mov_b32 s29, 0xbfc55555
	s_mov_b32 s28, s18
	v_fmac_f64_e32 v[6:7], s[28:29], v[32:33]
	v_add_f64 v[4:5], v[4:5], -v[6:7]
	v_and_b32_e32 v6, 1, v18
	v_xor_b32_e32 v5, 0x80000000, v5
	v_cmp_eq_u32_e32 vcc, 0, v6
	v_cndmask_b32_e32 v16, v4, v20, vcc
	v_cndmask_b32_e32 v4, v5, v21, vcc
	v_lshlrev_b32_e32 v5, 30, v18
	v_and_b32_e32 v5, 0x80000000, v5
	v_xor_b32_e32 v17, v4, v5
	v_div_scale_f64 v[4:5], s[4:5], v[30:31], v[30:31], v[24:25]
	v_rcp_f64_e32 v[6:7], v[4:5]
	s_movk_i32 vcc_lo, 0x1f8
	v_cmp_class_f64_e64 s[4:5], v[2:3], vcc_lo
	v_and_b32_e32 v2, 1, v19
	v_fma_f64 v[20:21], -v[4:5], v[6:7], 1.0
	v_fmac_f64_e32 v[6:7], v[6:7], v[20:21]
	v_fma_f64 v[20:21], -v[4:5], v[6:7], 1.0
	v_fmac_f64_e32 v[6:7], v[6:7], v[20:21]
	v_div_scale_f64 v[20:21], vcc, v[24:25], v[30:31], v[24:25]
	v_mul_f64 v[26:27], v[20:21], v[6:7]
	v_fma_f64 v[4:5], -v[4:5], v[26:27], v[20:21]
	v_mov_b32_e32 v18, 0x7ff80000
	s_nop 0
	v_div_fmas_f64 v[4:5], v[4:5], v[6:7], v[26:27]
	v_div_fixup_f64 v[4:5], v[4:5], v[30:31], v[24:25]
	v_mul_f64 v[6:7], v[8:9], v[8:9]
	v_mul_f64 v[4:5], v[12:13], v[4:5]
	v_mul_f64 v[12:13], v[6:7], 0.5
	v_fmac_f64_e32 v[28:29], s[10:11], v[6:7]
	v_add_f64 v[20:21], -v[12:13], 1.0
	v_fma_f64 v[26:27], v[6:7], v[28:29], s[12:13]
	v_add_f64 v[24:25], -v[20:21], 1.0
	v_fma_f64 v[26:27], v[6:7], v[26:27], s[14:15]
	v_add_f64 v[12:13], v[24:25], -v[12:13]
	v_fma_f64 v[26:27], v[6:7], v[26:27], s[16:17]
	v_mul_f64 v[24:25], v[6:7], v[6:7]
	v_fma_f64 v[26:27], v[6:7], v[26:27], s[18:19]
	v_fma_f64 v[12:13], v[8:9], -v[10:11], v[12:13]
	v_fmac_f64_e32 v[12:13], v[24:25], v[26:27]
	v_fmac_f64_e32 v[22:23], s[20:21], v[6:7]
	v_add_f64 v[12:13], v[20:21], v[12:13]
	v_fma_f64 v[20:21], v[6:7], v[22:23], s[22:23]
	v_fma_f64 v[20:21], v[6:7], v[20:21], s[24:25]
	;; [unrolled: 1-line block ×3, first 2 shown]
	v_mul_f64 v[22:23], v[8:9], -v[6:7]
	v_mul_f64 v[24:25], v[10:11], 0.5
	v_fmac_f64_e32 v[24:25], v[22:23], v[20:21]
	v_fma_f64 v[6:7], v[6:7], v[24:25], -v[10:11]
	v_fmac_f64_e32 v[6:7], s[28:29], v[22:23]
	v_add_f64 v[6:7], v[8:9], -v[6:7]
	v_cmp_eq_u32_e32 vcc, 0, v2
	v_cndmask_b32_e32 v2, v12, v6, vcc
	v_cndmask_b32_e32 v6, v13, v7, vcc
	v_lshlrev_b32_e32 v7, 30, v19
	v_xor_b32_e32 v3, v7, v3
	v_and_b32_e32 v3, 0x80000000, v3
	v_xor_b32_e32 v3, v6, v3
	v_cndmask_b32_e64 v16, 0, v16, s[4:5]
	v_cndmask_b32_e64 v17, v18, v17, s[4:5]
	;; [unrolled: 1-line block ×4, first 2 shown]
	s_mov_b32 s4, 0
	s_brev_b32 s5, 8
	v_cmp_gt_f64_e32 vcc, s[4:5], v[0:1]
	v_mul_f64 v[2:3], v[4:5], v[2:3]
	v_cndmask_b32_e64 v4, 0, 1, vcc
	v_lshlrev_b32_e32 v4, 8, v4
	v_ldexp_f64 v[0:1], v[0:1], v4
	v_rsq_f64_e32 v[4:5], v[0:1]
	s_mov_b32 s4, 0x33d43651
	v_fma_f64 v[2:3], v[14:15], v[16:17], -v[2:3]
	s_mov_b32 s5, 0x3fe98845
	v_mul_f64 v[6:7], v[0:1], v[4:5]
	v_mul_f64 v[4:5], v[4:5], 0.5
	v_fma_f64 v[8:9], -v[4:5], v[6:7], 0.5
	v_fmac_f64_e32 v[6:7], v[6:7], v[8:9]
	v_fma_f64 v[10:11], -v[6:7], v[6:7], v[0:1]
	v_fmac_f64_e32 v[4:5], v[4:5], v[8:9]
	v_fmac_f64_e32 v[6:7], v[10:11], v[4:5]
	v_fma_f64 v[8:9], -v[6:7], v[6:7], v[0:1]
	v_fmac_f64_e32 v[6:7], v[8:9], v[4:5]
	v_mov_b32_e32 v4, 0xffffff80
	v_cndmask_b32_e32 v4, 0, v4, vcc
	v_ldexp_f64 v[4:5], v[6:7], v4
	v_mov_b32_e32 v6, 0x260
	v_cmp_class_f64_e32 vcc, v[0:1], v6
	v_mul_f64 v[2:3], v[2:3], s[4:5]
	v_cndmask_b32_e32 v1, v5, v1, vcc
	v_cndmask_b32_e32 v0, v4, v0, vcc
	v_div_scale_f64 v[4:5], s[4:5], v[0:1], v[0:1], v[2:3]
	v_rcp_f64_e32 v[6:7], v[4:5]
	v_fma_f64 v[8:9], -v[4:5], v[6:7], 1.0
	v_fmac_f64_e32 v[6:7], v[6:7], v[8:9]
	v_fma_f64 v[8:9], -v[4:5], v[6:7], 1.0
	v_fmac_f64_e32 v[6:7], v[6:7], v[8:9]
	v_div_scale_f64 v[8:9], vcc, v[2:3], v[0:1], v[2:3]
	v_mul_f64 v[10:11], v[8:9], v[6:7]
	v_fma_f64 v[4:5], -v[4:5], v[10:11], v[8:9]
	s_nop 1
	v_div_fmas_f64 v[4:5], v[4:5], v[6:7], v[10:11]
	v_div_fixup_f64 v[2:3], v[4:5], v[0:1], v[2:3]
.LBB0_13:
	s_or_b64 exec, exec, s[8:9]
                                        ; implicit-def: $vgpr0_vgpr1
.LBB0_14:
	s_andn2_saveexec_b64 s[34:35], s[6:7]
	s_cbranch_execz .LBB0_16
; %bb.15:
	v_xor_b32_e32 v1, 0x80000000, v1
	s_getpc_b64 s[4:5]
	s_add_u32 s4, s4, _Z17bessel_j1_forwardIdET_S0_@rel32@lo+4
	s_addc_u32 s5, s5, _Z17bessel_j1_forwardIdET_S0_@rel32@hi+12
	s_swappc_b64 s[30:31], s[4:5]
	v_mov_b32_e32 v2, v0
	v_xor_b32_e32 v3, 0x80000000, v1
.LBB0_16:
	s_or_b64 exec, exec, s[34:35]
	v_readlane_b32 s30, v40, 2
	v_mov_b32_e32 v0, v2
	v_mov_b32_e32 v1, v3
	v_readlane_b32 s31, v40, 3
	v_readlane_b32 s35, v40, 1
	;; [unrolled: 1-line block ×4, first 2 shown]
	s_or_saveexec_b64 s[6:7], -1
	buffer_load_dword v40, off, s[0:3], s33 ; 4-byte Folded Reload
	s_mov_b64 exec, s[6:7]
	s_addk_i32 s32, 0xfc00
	s_mov_b32 s33, s4
	s_waitcnt vmcnt(0)
	s_setpc_b64 s[30:31]
.Lfunc_end0:
	.size	_Z17bessel_j1_forwardIdET_S0_, .Lfunc_end0-_Z17bessel_j1_forwardIdET_S0_
                                        ; -- End function
	.section	.AMDGPU.csdata,"",@progbits
; Function info:
; codeLenInByte = 4124
; NumSgprs: 40
; NumVgprs: 41
; NumAgprs: 0
; TotalNumVgprs: 41
; ScratchSize: 16
; MemoryBound: 0
	.section	.text._ZN2at6native29vectorized_elementwise_kernelILi16EZZZNS0_12_GLOBAL__N_121bessel_j1_kernel_cudaERNS_18TensorIteratorBaseEENKUlvE_clEvENKUlvE_clEvEUldE_St5arrayIPcLm2EEEEviT0_T1_,"axG",@progbits,_ZN2at6native29vectorized_elementwise_kernelILi16EZZZNS0_12_GLOBAL__N_121bessel_j1_kernel_cudaERNS_18TensorIteratorBaseEENKUlvE_clEvENKUlvE_clEvEUldE_St5arrayIPcLm2EEEEviT0_T1_,comdat
	.globl	_ZN2at6native29vectorized_elementwise_kernelILi16EZZZNS0_12_GLOBAL__N_121bessel_j1_kernel_cudaERNS_18TensorIteratorBaseEENKUlvE_clEvENKUlvE_clEvEUldE_St5arrayIPcLm2EEEEviT0_T1_ ; -- Begin function _ZN2at6native29vectorized_elementwise_kernelILi16EZZZNS0_12_GLOBAL__N_121bessel_j1_kernel_cudaERNS_18TensorIteratorBaseEENKUlvE_clEvENKUlvE_clEvEUldE_St5arrayIPcLm2EEEEviT0_T1_
	.p2align	8
	.type	_ZN2at6native29vectorized_elementwise_kernelILi16EZZZNS0_12_GLOBAL__N_121bessel_j1_kernel_cudaERNS_18TensorIteratorBaseEENKUlvE_clEvENKUlvE_clEvEUldE_St5arrayIPcLm2EEEEviT0_T1_,@function
_ZN2at6native29vectorized_elementwise_kernelILi16EZZZNS0_12_GLOBAL__N_121bessel_j1_kernel_cudaERNS_18TensorIteratorBaseEENKUlvE_clEvENKUlvE_clEvEUldE_St5arrayIPcLm2EEEEviT0_T1_: ; @_ZN2at6native29vectorized_elementwise_kernelILi16EZZZNS0_12_GLOBAL__N_121bessel_j1_kernel_cudaERNS_18TensorIteratorBaseEENKUlvE_clEvENKUlvE_clEvEUldE_St5arrayIPcLm2EEEEviT0_T1_
; %bb.0:
	s_add_u32 flat_scratch_lo, s6, s9
	s_load_dword s6, s[4:5], 0x0
	s_load_dwordx4 s[40:43], s[4:5], 0x8
	s_addc_u32 flat_scratch_hi, s7, 0
	s_add_u32 s0, s0, s9
	s_addc_u32 s1, s1, 0
	s_lshl_b32 s38, s8, 10
	s_waitcnt lgkmcnt(0)
	s_sub_i32 s44, s6, s38
	v_mov_b32_e32 v41, v0
	s_cmpk_gt_i32 s44, 0x3ff
	s_mov_b64 s[4:5], -1
	s_mov_b32 s32, 0
	s_cbranch_scc0 .LBB1_2
; %bb.1:
	s_ashr_i32 s39, s38, 31
	s_lshl_b64 s[36:37], s[38:39], 3
	s_add_u32 s4, s42, s36
	s_addc_u32 s5, s43, s37
	v_lshlrev_b32_e32 v46, 5, v41
	global_load_dwordx4 v[42:45], v46, s[4:5]
	global_load_dwordx4 v[56:59], v46, s[4:5] offset:16
	s_getpc_b64 s[46:47]
	s_add_u32 s46, s46, _Z17bessel_j1_forwardIdET_S0_@rel32@lo+4
	s_addc_u32 s47, s47, _Z17bessel_j1_forwardIdET_S0_@rel32@hi+12
	s_waitcnt vmcnt(1)
	v_mov_b32_e32 v0, v42
	v_mov_b32_e32 v1, v43
	s_swappc_b64 s[30:31], s[46:47]
	v_mov_b32_e32 v42, v0
	v_mov_b32_e32 v43, v1
	v_mov_b32_e32 v0, v44
	v_mov_b32_e32 v1, v45
	s_swappc_b64 s[30:31], s[46:47]
	v_mov_b32_e32 v44, v0
	v_mov_b32_e32 v45, v1
	;; [unrolled: 5-line block ×3, first 2 shown]
	v_mov_b32_e32 v0, v58
	v_mov_b32_e32 v1, v59
	s_swappc_b64 s[30:31], s[46:47]
	s_add_u32 s4, s40, s36
	s_addc_u32 s5, s41, s37
	v_mov_b32_e32 v58, v0
	v_mov_b32_e32 v59, v1
	global_store_dwordx4 v46, v[42:45], s[4:5]
	global_store_dwordx4 v46, v[56:59], s[4:5] offset:16
	s_mov_b64 s[4:5], 0
.LBB1_2:
	s_andn2_b64 vcc, exec, s[4:5]
	s_cbranch_vccnz .LBB1_21
; %bb.3:
	v_pk_mov_b32 v[42:43], 0, 0
	v_cmp_gt_i32_e64 s[36:37], s44, v41
	v_or_b32_e32 v72, s38, v41
	v_pk_mov_b32 v[0:1], v[42:43], v[42:43] op_sel:[0,1]
	v_mov_b32_e32 v2, v41
	s_and_saveexec_b64 s[4:5], s[36:37]
	s_cbranch_execz .LBB1_5
; %bb.4:
	v_mov_b32_e32 v73, 0
	v_lshlrev_b64 v[0:1], 3, v[72:73]
	v_mov_b32_e32 v2, s43
	v_add_co_u32_e32 v0, vcc, s42, v0
	v_addc_co_u32_e32 v1, vcc, v2, v1, vcc
	global_load_dwordx2 v[0:1], v[0:1], off
	v_or_b32_e32 v2, 0x100, v41
.LBB1_5:
	s_or_b64 exec, exec, s[4:5]
	v_cmp_gt_i32_e32 vcc, s44, v2
	s_and_saveexec_b64 s[4:5], vcc
	s_cbranch_execz .LBB1_7
; %bb.6:
	v_add_u32_e32 v4, s38, v2
	v_mov_b32_e32 v5, 0
	v_lshlrev_b64 v[4:5], 3, v[4:5]
	v_mov_b32_e32 v3, s43
	v_add_co_u32_e32 v4, vcc, s42, v4
	v_addc_co_u32_e32 v5, vcc, v3, v5, vcc
	global_load_dwordx2 v[42:43], v[4:5], off
	v_add_u32_e32 v2, 0x100, v2
.LBB1_7:
	s_or_b64 exec, exec, s[4:5]
	v_pk_mov_b32 v[44:45], 0, 0
	v_cmp_gt_i32_e32 vcc, s44, v2
	v_pk_mov_b32 v[46:47], v[44:45], v[44:45] op_sel:[0,1]
	s_and_saveexec_b64 s[4:5], vcc
	s_cbranch_execnz .LBB1_22
; %bb.8:
	s_or_b64 exec, exec, s[4:5]
	v_cmp_gt_i32_e32 vcc, s44, v2
	s_and_saveexec_b64 s[4:5], vcc
	s_cbranch_execnz .LBB1_23
.LBB1_9:
	s_or_b64 exec, exec, s[4:5]
                                        ; implicit-def: $vgpr56_vgpr57_vgpr58_vgpr59_vgpr60_vgpr61_vgpr62_vgpr63
	s_and_saveexec_b64 s[42:43], s[36:37]
	s_cbranch_execz .LBB1_11
.LBB1_10:
	s_getpc_b64 s[4:5]
	s_add_u32 s4, s4, _Z17bessel_j1_forwardIdET_S0_@rel32@lo+4
	s_addc_u32 s5, s5, _Z17bessel_j1_forwardIdET_S0_@rel32@hi+12
	s_swappc_b64 s[30:31], s[4:5]
	v_mov_b32_e32 v56, v0
	v_mov_b32_e32 v57, v1
.LBB1_11:
	s_or_b64 exec, exec, s[42:43]
	v_or_b32_e32 v74, 0x100, v41
	v_cmp_gt_i32_e32 vcc, s44, v74
	s_and_saveexec_b64 s[42:43], vcc
	s_cbranch_execz .LBB1_13
; %bb.12:
	s_waitcnt vmcnt(0)
	v_mov_b32_e32 v0, v42
	v_mov_b32_e32 v1, v43
	s_getpc_b64 s[4:5]
	s_add_u32 s4, s4, _Z17bessel_j1_forwardIdET_S0_@rel32@lo+4
	s_addc_u32 s5, s5, _Z17bessel_j1_forwardIdET_S0_@rel32@hi+12
	s_swappc_b64 s[30:31], s[4:5]
	v_mov_b32_e32 v58, v0
	v_mov_b32_e32 v59, v1
.LBB1_13:
	s_or_b64 exec, exec, s[42:43]
	s_waitcnt vmcnt(0)
	v_or_b32_e32 v0, 0x200, v41
	v_cmp_gt_i32_e32 vcc, s44, v0
	s_and_saveexec_b64 s[42:43], vcc
	s_cbranch_execz .LBB1_15
; %bb.14:
	v_mov_b32_e32 v0, v46
	v_mov_b32_e32 v1, v47
	s_getpc_b64 s[4:5]
	s_add_u32 s4, s4, _Z17bessel_j1_forwardIdET_S0_@rel32@lo+4
	s_addc_u32 s5, s5, _Z17bessel_j1_forwardIdET_S0_@rel32@hi+12
	s_swappc_b64 s[30:31], s[4:5]
	v_mov_b32_e32 v60, v0
	v_mov_b32_e32 v61, v1
.LBB1_15:
	s_or_b64 exec, exec, s[42:43]
	v_or_b32_e32 v0, 0x300, v41
	v_cmp_gt_i32_e32 vcc, s44, v0
	s_and_saveexec_b64 s[42:43], vcc
	s_cbranch_execnz .LBB1_24
; %bb.16:
	s_or_b64 exec, exec, s[42:43]
	s_and_saveexec_b64 s[4:5], s[36:37]
	s_xor_b64 s[4:5], exec, s[4:5]
	s_cbranch_execnz .LBB1_25
.LBB1_17:
	s_or_b64 exec, exec, s[4:5]
	v_cmp_gt_i32_e32 vcc, s44, v41
	s_and_saveexec_b64 s[4:5], vcc
	s_cbranch_execnz .LBB1_26
.LBB1_18:
	s_or_b64 exec, exec, s[4:5]
	v_cmp_gt_i32_e32 vcc, s44, v41
	s_and_saveexec_b64 s[4:5], vcc
	s_cbranch_execnz .LBB1_27
.LBB1_19:
	s_or_b64 exec, exec, s[4:5]
	v_cmp_gt_i32_e32 vcc, s44, v41
	s_and_saveexec_b64 s[4:5], vcc
	s_cbranch_execz .LBB1_21
.LBB1_20:
	v_add_u32_e32 v0, s38, v41
	v_mov_b32_e32 v1, 0
	v_lshlrev_b64 v[0:1], 3, v[0:1]
	v_mov_b32_e32 v2, s41
	v_add_co_u32_e32 v0, vcc, s40, v0
	v_addc_co_u32_e32 v1, vcc, v2, v1, vcc
	global_store_dwordx2 v[0:1], v[62:63], off
.LBB1_21:
	s_endpgm
.LBB1_22:
	v_add_u32_e32 v4, s38, v2
	v_mov_b32_e32 v5, 0
	v_lshlrev_b64 v[4:5], 3, v[4:5]
	v_mov_b32_e32 v3, s43
	v_add_co_u32_e32 v4, vcc, s42, v4
	v_addc_co_u32_e32 v5, vcc, v3, v5, vcc
	global_load_dwordx2 v[46:47], v[4:5], off
	v_add_u32_e32 v2, 0x100, v2
	s_or_b64 exec, exec, s[4:5]
	v_cmp_gt_i32_e32 vcc, s44, v2
	s_and_saveexec_b64 s[4:5], vcc
	s_cbranch_execz .LBB1_9
.LBB1_23:
	v_add_u32_e32 v2, s38, v2
	v_mov_b32_e32 v3, 0
	v_lshlrev_b64 v[2:3], 3, v[2:3]
	v_mov_b32_e32 v4, s43
	v_add_co_u32_e32 v2, vcc, s42, v2
	v_addc_co_u32_e32 v3, vcc, v4, v3, vcc
	global_load_dwordx2 v[44:45], v[2:3], off
	s_or_b64 exec, exec, s[4:5]
                                        ; implicit-def: $vgpr56_vgpr57_vgpr58_vgpr59_vgpr60_vgpr61_vgpr62_vgpr63
	s_and_saveexec_b64 s[42:43], s[36:37]
	s_cbranch_execnz .LBB1_10
	s_branch .LBB1_11
.LBB1_24:
	v_mov_b32_e32 v0, v44
	v_mov_b32_e32 v1, v45
	s_getpc_b64 s[4:5]
	s_add_u32 s4, s4, _Z17bessel_j1_forwardIdET_S0_@rel32@lo+4
	s_addc_u32 s5, s5, _Z17bessel_j1_forwardIdET_S0_@rel32@hi+12
	s_swappc_b64 s[30:31], s[4:5]
	v_mov_b32_e32 v62, v0
	v_mov_b32_e32 v63, v1
	s_or_b64 exec, exec, s[42:43]
	s_and_saveexec_b64 s[4:5], s[36:37]
	s_xor_b64 s[4:5], exec, s[4:5]
	s_cbranch_execz .LBB1_17
.LBB1_25:
	v_mov_b32_e32 v73, 0
	v_lshlrev_b64 v[0:1], 3, v[72:73]
	v_mov_b32_e32 v2, s41
	v_add_co_u32_e32 v0, vcc, s40, v0
	v_addc_co_u32_e32 v1, vcc, v2, v1, vcc
	v_mov_b32_e32 v41, v74
	global_store_dwordx2 v[0:1], v[56:57], off
	s_or_b64 exec, exec, s[4:5]
	v_cmp_gt_i32_e32 vcc, s44, v41
	s_and_saveexec_b64 s[4:5], vcc
	s_cbranch_execz .LBB1_18
.LBB1_26:
	v_add_u32_e32 v0, s38, v41
	v_mov_b32_e32 v1, 0
	v_lshlrev_b64 v[0:1], 3, v[0:1]
	v_mov_b32_e32 v2, s41
	v_add_co_u32_e32 v0, vcc, s40, v0
	v_addc_co_u32_e32 v1, vcc, v2, v1, vcc
	v_add_u32_e32 v41, 0x100, v41
	global_store_dwordx2 v[0:1], v[58:59], off
	s_or_b64 exec, exec, s[4:5]
	v_cmp_gt_i32_e32 vcc, s44, v41
	s_and_saveexec_b64 s[4:5], vcc
	s_cbranch_execz .LBB1_19
.LBB1_27:
	v_add_u32_e32 v0, s38, v41
	v_mov_b32_e32 v1, 0
	v_lshlrev_b64 v[0:1], 3, v[0:1]
	v_mov_b32_e32 v2, s41
	v_add_co_u32_e32 v0, vcc, s40, v0
	v_addc_co_u32_e32 v1, vcc, v2, v1, vcc
	v_add_u32_e32 v41, 0x100, v41
	global_store_dwordx2 v[0:1], v[60:61], off
	s_or_b64 exec, exec, s[4:5]
	v_cmp_gt_i32_e32 vcc, s44, v41
	s_and_saveexec_b64 s[4:5], vcc
	s_cbranch_execnz .LBB1_20
	s_branch .LBB1_21
	.section	.rodata,"a",@progbits
	.p2align	6, 0x0
	.amdhsa_kernel _ZN2at6native29vectorized_elementwise_kernelILi16EZZZNS0_12_GLOBAL__N_121bessel_j1_kernel_cudaERNS_18TensorIteratorBaseEENKUlvE_clEvENKUlvE_clEvEUldE_St5arrayIPcLm2EEEEviT0_T1_
		.amdhsa_group_segment_fixed_size 0
		.amdhsa_private_segment_fixed_size 16
		.amdhsa_kernarg_size 24
		.amdhsa_user_sgpr_count 8
		.amdhsa_user_sgpr_private_segment_buffer 1
		.amdhsa_user_sgpr_dispatch_ptr 0
		.amdhsa_user_sgpr_queue_ptr 0
		.amdhsa_user_sgpr_kernarg_segment_ptr 1
		.amdhsa_user_sgpr_dispatch_id 0
		.amdhsa_user_sgpr_flat_scratch_init 1
		.amdhsa_user_sgpr_kernarg_preload_length 0
		.amdhsa_user_sgpr_kernarg_preload_offset 0
		.amdhsa_user_sgpr_private_segment_size 0
		.amdhsa_uses_dynamic_stack 1
		.amdhsa_system_sgpr_private_segment_wavefront_offset 1
		.amdhsa_system_sgpr_workgroup_id_x 1
		.amdhsa_system_sgpr_workgroup_id_y 0
		.amdhsa_system_sgpr_workgroup_id_z 0
		.amdhsa_system_sgpr_workgroup_info 0
		.amdhsa_system_vgpr_workitem_id 0
		.amdhsa_next_free_vgpr 75
		.amdhsa_next_free_sgpr 48
		.amdhsa_accum_offset 76
		.amdhsa_reserve_vcc 1
		.amdhsa_reserve_flat_scratch 1
		.amdhsa_float_round_mode_32 0
		.amdhsa_float_round_mode_16_64 0
		.amdhsa_float_denorm_mode_32 3
		.amdhsa_float_denorm_mode_16_64 3
		.amdhsa_dx10_clamp 1
		.amdhsa_ieee_mode 1
		.amdhsa_fp16_overflow 0
		.amdhsa_tg_split 0
		.amdhsa_exception_fp_ieee_invalid_op 0
		.amdhsa_exception_fp_denorm_src 0
		.amdhsa_exception_fp_ieee_div_zero 0
		.amdhsa_exception_fp_ieee_overflow 0
		.amdhsa_exception_fp_ieee_underflow 0
		.amdhsa_exception_fp_ieee_inexact 0
		.amdhsa_exception_int_div_zero 0
	.end_amdhsa_kernel
	.section	.text._ZN2at6native29vectorized_elementwise_kernelILi16EZZZNS0_12_GLOBAL__N_121bessel_j1_kernel_cudaERNS_18TensorIteratorBaseEENKUlvE_clEvENKUlvE_clEvEUldE_St5arrayIPcLm2EEEEviT0_T1_,"axG",@progbits,_ZN2at6native29vectorized_elementwise_kernelILi16EZZZNS0_12_GLOBAL__N_121bessel_j1_kernel_cudaERNS_18TensorIteratorBaseEENKUlvE_clEvENKUlvE_clEvEUldE_St5arrayIPcLm2EEEEviT0_T1_,comdat
.Lfunc_end1:
	.size	_ZN2at6native29vectorized_elementwise_kernelILi16EZZZNS0_12_GLOBAL__N_121bessel_j1_kernel_cudaERNS_18TensorIteratorBaseEENKUlvE_clEvENKUlvE_clEvEUldE_St5arrayIPcLm2EEEEviT0_T1_, .Lfunc_end1-_ZN2at6native29vectorized_elementwise_kernelILi16EZZZNS0_12_GLOBAL__N_121bessel_j1_kernel_cudaERNS_18TensorIteratorBaseEENKUlvE_clEvENKUlvE_clEvEUldE_St5arrayIPcLm2EEEEviT0_T1_
                                        ; -- End function
	.section	.AMDGPU.csdata,"",@progbits
; Kernel info:
; codeLenInByte = 1080
; NumSgprs: 54
; NumVgprs: 75
; NumAgprs: 0
; TotalNumVgprs: 75
; ScratchSize: 16
; MemoryBound: 0
; FloatMode: 240
; IeeeMode: 1
; LDSByteSize: 0 bytes/workgroup (compile time only)
; SGPRBlocks: 6
; VGPRBlocks: 9
; NumSGPRsForWavesPerEU: 54
; NumVGPRsForWavesPerEU: 75
; AccumOffset: 76
; Occupancy: 6
; WaveLimiterHint : 0
; COMPUTE_PGM_RSRC2:SCRATCH_EN: 1
; COMPUTE_PGM_RSRC2:USER_SGPR: 8
; COMPUTE_PGM_RSRC2:TRAP_HANDLER: 0
; COMPUTE_PGM_RSRC2:TGID_X_EN: 1
; COMPUTE_PGM_RSRC2:TGID_Y_EN: 0
; COMPUTE_PGM_RSRC2:TGID_Z_EN: 0
; COMPUTE_PGM_RSRC2:TIDIG_COMP_CNT: 0
; COMPUTE_PGM_RSRC3_GFX90A:ACCUM_OFFSET: 18
; COMPUTE_PGM_RSRC3_GFX90A:TG_SPLIT: 0
	.section	.text._ZN2at6native29vectorized_elementwise_kernelILi8EZZZNS0_12_GLOBAL__N_121bessel_j1_kernel_cudaERNS_18TensorIteratorBaseEENKUlvE_clEvENKUlvE_clEvEUldE_St5arrayIPcLm2EEEEviT0_T1_,"axG",@progbits,_ZN2at6native29vectorized_elementwise_kernelILi8EZZZNS0_12_GLOBAL__N_121bessel_j1_kernel_cudaERNS_18TensorIteratorBaseEENKUlvE_clEvENKUlvE_clEvEUldE_St5arrayIPcLm2EEEEviT0_T1_,comdat
	.globl	_ZN2at6native29vectorized_elementwise_kernelILi8EZZZNS0_12_GLOBAL__N_121bessel_j1_kernel_cudaERNS_18TensorIteratorBaseEENKUlvE_clEvENKUlvE_clEvEUldE_St5arrayIPcLm2EEEEviT0_T1_ ; -- Begin function _ZN2at6native29vectorized_elementwise_kernelILi8EZZZNS0_12_GLOBAL__N_121bessel_j1_kernel_cudaERNS_18TensorIteratorBaseEENKUlvE_clEvENKUlvE_clEvEUldE_St5arrayIPcLm2EEEEviT0_T1_
	.p2align	8
	.type	_ZN2at6native29vectorized_elementwise_kernelILi8EZZZNS0_12_GLOBAL__N_121bessel_j1_kernel_cudaERNS_18TensorIteratorBaseEENKUlvE_clEvENKUlvE_clEvEUldE_St5arrayIPcLm2EEEEviT0_T1_,@function
_ZN2at6native29vectorized_elementwise_kernelILi8EZZZNS0_12_GLOBAL__N_121bessel_j1_kernel_cudaERNS_18TensorIteratorBaseEENKUlvE_clEvENKUlvE_clEvEUldE_St5arrayIPcLm2EEEEviT0_T1_: ; @_ZN2at6native29vectorized_elementwise_kernelILi8EZZZNS0_12_GLOBAL__N_121bessel_j1_kernel_cudaERNS_18TensorIteratorBaseEENKUlvE_clEvENKUlvE_clEvEUldE_St5arrayIPcLm2EEEEviT0_T1_
; %bb.0:
	s_add_u32 flat_scratch_lo, s6, s9
	s_load_dword s6, s[4:5], 0x0
	s_load_dwordx4 s[40:43], s[4:5], 0x8
	s_addc_u32 flat_scratch_hi, s7, 0
	s_add_u32 s0, s0, s9
	s_addc_u32 s1, s1, 0
	s_lshl_b32 s38, s8, 10
	s_waitcnt lgkmcnt(0)
	s_sub_i32 s44, s6, s38
	v_mov_b32_e32 v41, v0
	s_cmpk_gt_i32 s44, 0x3ff
	s_mov_b64 s[4:5], -1
	s_mov_b32 s32, 0
	s_cbranch_scc0 .LBB2_2
; %bb.1:
	s_ashr_i32 s39, s38, 31
	s_lshl_b64 s[36:37], s[38:39], 3
	s_add_u32 s4, s42, s36
	s_addc_u32 s5, s43, s37
	v_lshlrev_b32_e32 v46, 5, v41
	global_load_dwordx4 v[42:45], v46, s[4:5]
	global_load_dwordx4 v[56:59], v46, s[4:5] offset:16
	s_getpc_b64 s[46:47]
	s_add_u32 s46, s46, _Z17bessel_j1_forwardIdET_S0_@rel32@lo+4
	s_addc_u32 s47, s47, _Z17bessel_j1_forwardIdET_S0_@rel32@hi+12
	s_waitcnt vmcnt(1)
	v_mov_b32_e32 v0, v42
	v_mov_b32_e32 v1, v43
	s_swappc_b64 s[30:31], s[46:47]
	v_mov_b32_e32 v42, v0
	v_mov_b32_e32 v43, v1
	v_mov_b32_e32 v0, v44
	v_mov_b32_e32 v1, v45
	s_swappc_b64 s[30:31], s[46:47]
	v_mov_b32_e32 v44, v0
	v_mov_b32_e32 v45, v1
	;; [unrolled: 5-line block ×3, first 2 shown]
	v_mov_b32_e32 v0, v58
	v_mov_b32_e32 v1, v59
	s_swappc_b64 s[30:31], s[46:47]
	s_add_u32 s4, s40, s36
	s_addc_u32 s5, s41, s37
	v_mov_b32_e32 v58, v0
	v_mov_b32_e32 v59, v1
	global_store_dwordx4 v46, v[42:45], s[4:5]
	global_store_dwordx4 v46, v[56:59], s[4:5] offset:16
	s_mov_b64 s[4:5], 0
.LBB2_2:
	s_andn2_b64 vcc, exec, s[4:5]
	s_cbranch_vccnz .LBB2_21
; %bb.3:
	v_pk_mov_b32 v[42:43], 0, 0
	v_cmp_gt_i32_e64 s[36:37], s44, v41
	v_or_b32_e32 v72, s38, v41
	v_pk_mov_b32 v[0:1], v[42:43], v[42:43] op_sel:[0,1]
	v_mov_b32_e32 v2, v41
	s_and_saveexec_b64 s[4:5], s[36:37]
	s_cbranch_execz .LBB2_5
; %bb.4:
	v_mov_b32_e32 v73, 0
	v_lshlrev_b64 v[0:1], 3, v[72:73]
	v_mov_b32_e32 v2, s43
	v_add_co_u32_e32 v0, vcc, s42, v0
	v_addc_co_u32_e32 v1, vcc, v2, v1, vcc
	global_load_dwordx2 v[0:1], v[0:1], off
	v_or_b32_e32 v2, 0x100, v41
.LBB2_5:
	s_or_b64 exec, exec, s[4:5]
	v_cmp_gt_i32_e32 vcc, s44, v2
	s_and_saveexec_b64 s[4:5], vcc
	s_cbranch_execz .LBB2_7
; %bb.6:
	v_add_u32_e32 v4, s38, v2
	v_mov_b32_e32 v5, 0
	v_lshlrev_b64 v[4:5], 3, v[4:5]
	v_mov_b32_e32 v3, s43
	v_add_co_u32_e32 v4, vcc, s42, v4
	v_addc_co_u32_e32 v5, vcc, v3, v5, vcc
	global_load_dwordx2 v[42:43], v[4:5], off
	v_add_u32_e32 v2, 0x100, v2
.LBB2_7:
	s_or_b64 exec, exec, s[4:5]
	v_pk_mov_b32 v[44:45], 0, 0
	v_cmp_gt_i32_e32 vcc, s44, v2
	v_pk_mov_b32 v[46:47], v[44:45], v[44:45] op_sel:[0,1]
	s_and_saveexec_b64 s[4:5], vcc
	s_cbranch_execnz .LBB2_22
; %bb.8:
	s_or_b64 exec, exec, s[4:5]
	v_cmp_gt_i32_e32 vcc, s44, v2
	s_and_saveexec_b64 s[4:5], vcc
	s_cbranch_execnz .LBB2_23
.LBB2_9:
	s_or_b64 exec, exec, s[4:5]
                                        ; implicit-def: $vgpr56_vgpr57_vgpr58_vgpr59_vgpr60_vgpr61_vgpr62_vgpr63
	s_and_saveexec_b64 s[42:43], s[36:37]
	s_cbranch_execz .LBB2_11
.LBB2_10:
	s_getpc_b64 s[4:5]
	s_add_u32 s4, s4, _Z17bessel_j1_forwardIdET_S0_@rel32@lo+4
	s_addc_u32 s5, s5, _Z17bessel_j1_forwardIdET_S0_@rel32@hi+12
	s_swappc_b64 s[30:31], s[4:5]
	v_mov_b32_e32 v56, v0
	v_mov_b32_e32 v57, v1
.LBB2_11:
	s_or_b64 exec, exec, s[42:43]
	v_or_b32_e32 v74, 0x100, v41
	v_cmp_gt_i32_e32 vcc, s44, v74
	s_and_saveexec_b64 s[42:43], vcc
	s_cbranch_execz .LBB2_13
; %bb.12:
	s_waitcnt vmcnt(0)
	v_mov_b32_e32 v0, v42
	v_mov_b32_e32 v1, v43
	s_getpc_b64 s[4:5]
	s_add_u32 s4, s4, _Z17bessel_j1_forwardIdET_S0_@rel32@lo+4
	s_addc_u32 s5, s5, _Z17bessel_j1_forwardIdET_S0_@rel32@hi+12
	s_swappc_b64 s[30:31], s[4:5]
	v_mov_b32_e32 v58, v0
	v_mov_b32_e32 v59, v1
.LBB2_13:
	s_or_b64 exec, exec, s[42:43]
	s_waitcnt vmcnt(0)
	v_or_b32_e32 v0, 0x200, v41
	v_cmp_gt_i32_e32 vcc, s44, v0
	s_and_saveexec_b64 s[42:43], vcc
	s_cbranch_execz .LBB2_15
; %bb.14:
	v_mov_b32_e32 v0, v46
	v_mov_b32_e32 v1, v47
	s_getpc_b64 s[4:5]
	s_add_u32 s4, s4, _Z17bessel_j1_forwardIdET_S0_@rel32@lo+4
	s_addc_u32 s5, s5, _Z17bessel_j1_forwardIdET_S0_@rel32@hi+12
	s_swappc_b64 s[30:31], s[4:5]
	v_mov_b32_e32 v60, v0
	v_mov_b32_e32 v61, v1
.LBB2_15:
	s_or_b64 exec, exec, s[42:43]
	v_or_b32_e32 v0, 0x300, v41
	v_cmp_gt_i32_e32 vcc, s44, v0
	s_and_saveexec_b64 s[42:43], vcc
	s_cbranch_execnz .LBB2_24
; %bb.16:
	s_or_b64 exec, exec, s[42:43]
	s_and_saveexec_b64 s[4:5], s[36:37]
	s_xor_b64 s[4:5], exec, s[4:5]
	s_cbranch_execnz .LBB2_25
.LBB2_17:
	s_or_b64 exec, exec, s[4:5]
	v_cmp_gt_i32_e32 vcc, s44, v41
	s_and_saveexec_b64 s[4:5], vcc
	s_cbranch_execnz .LBB2_26
.LBB2_18:
	s_or_b64 exec, exec, s[4:5]
	v_cmp_gt_i32_e32 vcc, s44, v41
	s_and_saveexec_b64 s[4:5], vcc
	s_cbranch_execnz .LBB2_27
.LBB2_19:
	s_or_b64 exec, exec, s[4:5]
	v_cmp_gt_i32_e32 vcc, s44, v41
	s_and_saveexec_b64 s[4:5], vcc
	s_cbranch_execz .LBB2_21
.LBB2_20:
	v_add_u32_e32 v0, s38, v41
	v_mov_b32_e32 v1, 0
	v_lshlrev_b64 v[0:1], 3, v[0:1]
	v_mov_b32_e32 v2, s41
	v_add_co_u32_e32 v0, vcc, s40, v0
	v_addc_co_u32_e32 v1, vcc, v2, v1, vcc
	global_store_dwordx2 v[0:1], v[62:63], off
.LBB2_21:
	s_endpgm
.LBB2_22:
	v_add_u32_e32 v4, s38, v2
	v_mov_b32_e32 v5, 0
	v_lshlrev_b64 v[4:5], 3, v[4:5]
	v_mov_b32_e32 v3, s43
	v_add_co_u32_e32 v4, vcc, s42, v4
	v_addc_co_u32_e32 v5, vcc, v3, v5, vcc
	global_load_dwordx2 v[46:47], v[4:5], off
	v_add_u32_e32 v2, 0x100, v2
	s_or_b64 exec, exec, s[4:5]
	v_cmp_gt_i32_e32 vcc, s44, v2
	s_and_saveexec_b64 s[4:5], vcc
	s_cbranch_execz .LBB2_9
.LBB2_23:
	v_add_u32_e32 v2, s38, v2
	v_mov_b32_e32 v3, 0
	v_lshlrev_b64 v[2:3], 3, v[2:3]
	v_mov_b32_e32 v4, s43
	v_add_co_u32_e32 v2, vcc, s42, v2
	v_addc_co_u32_e32 v3, vcc, v4, v3, vcc
	global_load_dwordx2 v[44:45], v[2:3], off
	s_or_b64 exec, exec, s[4:5]
                                        ; implicit-def: $vgpr56_vgpr57_vgpr58_vgpr59_vgpr60_vgpr61_vgpr62_vgpr63
	s_and_saveexec_b64 s[42:43], s[36:37]
	s_cbranch_execnz .LBB2_10
	s_branch .LBB2_11
.LBB2_24:
	v_mov_b32_e32 v0, v44
	v_mov_b32_e32 v1, v45
	s_getpc_b64 s[4:5]
	s_add_u32 s4, s4, _Z17bessel_j1_forwardIdET_S0_@rel32@lo+4
	s_addc_u32 s5, s5, _Z17bessel_j1_forwardIdET_S0_@rel32@hi+12
	s_swappc_b64 s[30:31], s[4:5]
	v_mov_b32_e32 v62, v0
	v_mov_b32_e32 v63, v1
	s_or_b64 exec, exec, s[42:43]
	s_and_saveexec_b64 s[4:5], s[36:37]
	s_xor_b64 s[4:5], exec, s[4:5]
	s_cbranch_execz .LBB2_17
.LBB2_25:
	v_mov_b32_e32 v73, 0
	v_lshlrev_b64 v[0:1], 3, v[72:73]
	v_mov_b32_e32 v2, s41
	v_add_co_u32_e32 v0, vcc, s40, v0
	v_addc_co_u32_e32 v1, vcc, v2, v1, vcc
	v_mov_b32_e32 v41, v74
	global_store_dwordx2 v[0:1], v[56:57], off
	s_or_b64 exec, exec, s[4:5]
	v_cmp_gt_i32_e32 vcc, s44, v41
	s_and_saveexec_b64 s[4:5], vcc
	s_cbranch_execz .LBB2_18
.LBB2_26:
	v_add_u32_e32 v0, s38, v41
	v_mov_b32_e32 v1, 0
	v_lshlrev_b64 v[0:1], 3, v[0:1]
	v_mov_b32_e32 v2, s41
	v_add_co_u32_e32 v0, vcc, s40, v0
	v_addc_co_u32_e32 v1, vcc, v2, v1, vcc
	v_add_u32_e32 v41, 0x100, v41
	global_store_dwordx2 v[0:1], v[58:59], off
	s_or_b64 exec, exec, s[4:5]
	v_cmp_gt_i32_e32 vcc, s44, v41
	s_and_saveexec_b64 s[4:5], vcc
	s_cbranch_execz .LBB2_19
.LBB2_27:
	v_add_u32_e32 v0, s38, v41
	v_mov_b32_e32 v1, 0
	v_lshlrev_b64 v[0:1], 3, v[0:1]
	v_mov_b32_e32 v2, s41
	v_add_co_u32_e32 v0, vcc, s40, v0
	v_addc_co_u32_e32 v1, vcc, v2, v1, vcc
	v_add_u32_e32 v41, 0x100, v41
	global_store_dwordx2 v[0:1], v[60:61], off
	s_or_b64 exec, exec, s[4:5]
	v_cmp_gt_i32_e32 vcc, s44, v41
	s_and_saveexec_b64 s[4:5], vcc
	s_cbranch_execnz .LBB2_20
	s_branch .LBB2_21
	.section	.rodata,"a",@progbits
	.p2align	6, 0x0
	.amdhsa_kernel _ZN2at6native29vectorized_elementwise_kernelILi8EZZZNS0_12_GLOBAL__N_121bessel_j1_kernel_cudaERNS_18TensorIteratorBaseEENKUlvE_clEvENKUlvE_clEvEUldE_St5arrayIPcLm2EEEEviT0_T1_
		.amdhsa_group_segment_fixed_size 0
		.amdhsa_private_segment_fixed_size 16
		.amdhsa_kernarg_size 24
		.amdhsa_user_sgpr_count 8
		.amdhsa_user_sgpr_private_segment_buffer 1
		.amdhsa_user_sgpr_dispatch_ptr 0
		.amdhsa_user_sgpr_queue_ptr 0
		.amdhsa_user_sgpr_kernarg_segment_ptr 1
		.amdhsa_user_sgpr_dispatch_id 0
		.amdhsa_user_sgpr_flat_scratch_init 1
		.amdhsa_user_sgpr_kernarg_preload_length 0
		.amdhsa_user_sgpr_kernarg_preload_offset 0
		.amdhsa_user_sgpr_private_segment_size 0
		.amdhsa_uses_dynamic_stack 1
		.amdhsa_system_sgpr_private_segment_wavefront_offset 1
		.amdhsa_system_sgpr_workgroup_id_x 1
		.amdhsa_system_sgpr_workgroup_id_y 0
		.amdhsa_system_sgpr_workgroup_id_z 0
		.amdhsa_system_sgpr_workgroup_info 0
		.amdhsa_system_vgpr_workitem_id 0
		.amdhsa_next_free_vgpr 75
		.amdhsa_next_free_sgpr 48
		.amdhsa_accum_offset 76
		.amdhsa_reserve_vcc 1
		.amdhsa_reserve_flat_scratch 1
		.amdhsa_float_round_mode_32 0
		.amdhsa_float_round_mode_16_64 0
		.amdhsa_float_denorm_mode_32 3
		.amdhsa_float_denorm_mode_16_64 3
		.amdhsa_dx10_clamp 1
		.amdhsa_ieee_mode 1
		.amdhsa_fp16_overflow 0
		.amdhsa_tg_split 0
		.amdhsa_exception_fp_ieee_invalid_op 0
		.amdhsa_exception_fp_denorm_src 0
		.amdhsa_exception_fp_ieee_div_zero 0
		.amdhsa_exception_fp_ieee_overflow 0
		.amdhsa_exception_fp_ieee_underflow 0
		.amdhsa_exception_fp_ieee_inexact 0
		.amdhsa_exception_int_div_zero 0
	.end_amdhsa_kernel
	.section	.text._ZN2at6native29vectorized_elementwise_kernelILi8EZZZNS0_12_GLOBAL__N_121bessel_j1_kernel_cudaERNS_18TensorIteratorBaseEENKUlvE_clEvENKUlvE_clEvEUldE_St5arrayIPcLm2EEEEviT0_T1_,"axG",@progbits,_ZN2at6native29vectorized_elementwise_kernelILi8EZZZNS0_12_GLOBAL__N_121bessel_j1_kernel_cudaERNS_18TensorIteratorBaseEENKUlvE_clEvENKUlvE_clEvEUldE_St5arrayIPcLm2EEEEviT0_T1_,comdat
.Lfunc_end2:
	.size	_ZN2at6native29vectorized_elementwise_kernelILi8EZZZNS0_12_GLOBAL__N_121bessel_j1_kernel_cudaERNS_18TensorIteratorBaseEENKUlvE_clEvENKUlvE_clEvEUldE_St5arrayIPcLm2EEEEviT0_T1_, .Lfunc_end2-_ZN2at6native29vectorized_elementwise_kernelILi8EZZZNS0_12_GLOBAL__N_121bessel_j1_kernel_cudaERNS_18TensorIteratorBaseEENKUlvE_clEvENKUlvE_clEvEUldE_St5arrayIPcLm2EEEEviT0_T1_
                                        ; -- End function
	.section	.AMDGPU.csdata,"",@progbits
; Kernel info:
; codeLenInByte = 1080
; NumSgprs: 54
; NumVgprs: 75
; NumAgprs: 0
; TotalNumVgprs: 75
; ScratchSize: 16
; MemoryBound: 0
; FloatMode: 240
; IeeeMode: 1
; LDSByteSize: 0 bytes/workgroup (compile time only)
; SGPRBlocks: 6
; VGPRBlocks: 9
; NumSGPRsForWavesPerEU: 54
; NumVGPRsForWavesPerEU: 75
; AccumOffset: 76
; Occupancy: 6
; WaveLimiterHint : 0
; COMPUTE_PGM_RSRC2:SCRATCH_EN: 1
; COMPUTE_PGM_RSRC2:USER_SGPR: 8
; COMPUTE_PGM_RSRC2:TRAP_HANDLER: 0
; COMPUTE_PGM_RSRC2:TGID_X_EN: 1
; COMPUTE_PGM_RSRC2:TGID_Y_EN: 0
; COMPUTE_PGM_RSRC2:TGID_Z_EN: 0
; COMPUTE_PGM_RSRC2:TIDIG_COMP_CNT: 0
; COMPUTE_PGM_RSRC3_GFX90A:ACCUM_OFFSET: 18
; COMPUTE_PGM_RSRC3_GFX90A:TG_SPLIT: 0
	.section	.text._ZN2at6native29vectorized_elementwise_kernelILi4EZZZNS0_12_GLOBAL__N_121bessel_j1_kernel_cudaERNS_18TensorIteratorBaseEENKUlvE_clEvENKUlvE_clEvEUldE_St5arrayIPcLm2EEEEviT0_T1_,"axG",@progbits,_ZN2at6native29vectorized_elementwise_kernelILi4EZZZNS0_12_GLOBAL__N_121bessel_j1_kernel_cudaERNS_18TensorIteratorBaseEENKUlvE_clEvENKUlvE_clEvEUldE_St5arrayIPcLm2EEEEviT0_T1_,comdat
	.globl	_ZN2at6native29vectorized_elementwise_kernelILi4EZZZNS0_12_GLOBAL__N_121bessel_j1_kernel_cudaERNS_18TensorIteratorBaseEENKUlvE_clEvENKUlvE_clEvEUldE_St5arrayIPcLm2EEEEviT0_T1_ ; -- Begin function _ZN2at6native29vectorized_elementwise_kernelILi4EZZZNS0_12_GLOBAL__N_121bessel_j1_kernel_cudaERNS_18TensorIteratorBaseEENKUlvE_clEvENKUlvE_clEvEUldE_St5arrayIPcLm2EEEEviT0_T1_
	.p2align	8
	.type	_ZN2at6native29vectorized_elementwise_kernelILi4EZZZNS0_12_GLOBAL__N_121bessel_j1_kernel_cudaERNS_18TensorIteratorBaseEENKUlvE_clEvENKUlvE_clEvEUldE_St5arrayIPcLm2EEEEviT0_T1_,@function
_ZN2at6native29vectorized_elementwise_kernelILi4EZZZNS0_12_GLOBAL__N_121bessel_j1_kernel_cudaERNS_18TensorIteratorBaseEENKUlvE_clEvENKUlvE_clEvEUldE_St5arrayIPcLm2EEEEviT0_T1_: ; @_ZN2at6native29vectorized_elementwise_kernelILi4EZZZNS0_12_GLOBAL__N_121bessel_j1_kernel_cudaERNS_18TensorIteratorBaseEENKUlvE_clEvENKUlvE_clEvEUldE_St5arrayIPcLm2EEEEviT0_T1_
; %bb.0:
	s_add_u32 flat_scratch_lo, s6, s9
	s_load_dword s6, s[4:5], 0x0
	s_load_dwordx4 s[40:43], s[4:5], 0x8
	s_addc_u32 flat_scratch_hi, s7, 0
	s_add_u32 s0, s0, s9
	s_addc_u32 s1, s1, 0
	s_lshl_b32 s38, s8, 10
	s_waitcnt lgkmcnt(0)
	s_sub_i32 s44, s6, s38
	v_mov_b32_e32 v41, v0
	s_cmpk_gt_i32 s44, 0x3ff
	s_mov_b64 s[4:5], -1
	s_mov_b32 s32, 0
	s_cbranch_scc0 .LBB3_2
; %bb.1:
	s_ashr_i32 s39, s38, 31
	s_lshl_b64 s[36:37], s[38:39], 3
	s_add_u32 s4, s42, s36
	s_addc_u32 s5, s43, s37
	v_lshlrev_b32_e32 v46, 5, v41
	global_load_dwordx4 v[42:45], v46, s[4:5]
	global_load_dwordx4 v[56:59], v46, s[4:5] offset:16
	s_getpc_b64 s[46:47]
	s_add_u32 s46, s46, _Z17bessel_j1_forwardIdET_S0_@rel32@lo+4
	s_addc_u32 s47, s47, _Z17bessel_j1_forwardIdET_S0_@rel32@hi+12
	s_waitcnt vmcnt(1)
	v_mov_b32_e32 v0, v42
	v_mov_b32_e32 v1, v43
	s_swappc_b64 s[30:31], s[46:47]
	v_mov_b32_e32 v42, v0
	v_mov_b32_e32 v43, v1
	v_mov_b32_e32 v0, v44
	v_mov_b32_e32 v1, v45
	s_swappc_b64 s[30:31], s[46:47]
	v_mov_b32_e32 v44, v0
	v_mov_b32_e32 v45, v1
	;; [unrolled: 5-line block ×3, first 2 shown]
	v_mov_b32_e32 v0, v58
	v_mov_b32_e32 v1, v59
	s_swappc_b64 s[30:31], s[46:47]
	s_add_u32 s4, s40, s36
	s_addc_u32 s5, s41, s37
	v_mov_b32_e32 v58, v0
	v_mov_b32_e32 v59, v1
	global_store_dwordx4 v46, v[42:45], s[4:5]
	global_store_dwordx4 v46, v[56:59], s[4:5] offset:16
	s_mov_b64 s[4:5], 0
.LBB3_2:
	s_andn2_b64 vcc, exec, s[4:5]
	s_cbranch_vccnz .LBB3_21
; %bb.3:
	v_pk_mov_b32 v[42:43], 0, 0
	v_cmp_gt_i32_e64 s[36:37], s44, v41
	v_or_b32_e32 v72, s38, v41
	v_pk_mov_b32 v[0:1], v[42:43], v[42:43] op_sel:[0,1]
	v_mov_b32_e32 v2, v41
	s_and_saveexec_b64 s[4:5], s[36:37]
	s_cbranch_execz .LBB3_5
; %bb.4:
	v_mov_b32_e32 v73, 0
	v_lshlrev_b64 v[0:1], 3, v[72:73]
	v_mov_b32_e32 v2, s43
	v_add_co_u32_e32 v0, vcc, s42, v0
	v_addc_co_u32_e32 v1, vcc, v2, v1, vcc
	global_load_dwordx2 v[0:1], v[0:1], off
	v_or_b32_e32 v2, 0x100, v41
.LBB3_5:
	s_or_b64 exec, exec, s[4:5]
	v_cmp_gt_i32_e32 vcc, s44, v2
	s_and_saveexec_b64 s[4:5], vcc
	s_cbranch_execz .LBB3_7
; %bb.6:
	v_add_u32_e32 v4, s38, v2
	v_mov_b32_e32 v5, 0
	v_lshlrev_b64 v[4:5], 3, v[4:5]
	v_mov_b32_e32 v3, s43
	v_add_co_u32_e32 v4, vcc, s42, v4
	v_addc_co_u32_e32 v5, vcc, v3, v5, vcc
	global_load_dwordx2 v[42:43], v[4:5], off
	v_add_u32_e32 v2, 0x100, v2
.LBB3_7:
	s_or_b64 exec, exec, s[4:5]
	v_pk_mov_b32 v[44:45], 0, 0
	v_cmp_gt_i32_e32 vcc, s44, v2
	v_pk_mov_b32 v[46:47], v[44:45], v[44:45] op_sel:[0,1]
	s_and_saveexec_b64 s[4:5], vcc
	s_cbranch_execnz .LBB3_22
; %bb.8:
	s_or_b64 exec, exec, s[4:5]
	v_cmp_gt_i32_e32 vcc, s44, v2
	s_and_saveexec_b64 s[4:5], vcc
	s_cbranch_execnz .LBB3_23
.LBB3_9:
	s_or_b64 exec, exec, s[4:5]
                                        ; implicit-def: $vgpr56_vgpr57_vgpr58_vgpr59_vgpr60_vgpr61_vgpr62_vgpr63
	s_and_saveexec_b64 s[42:43], s[36:37]
	s_cbranch_execz .LBB3_11
.LBB3_10:
	s_getpc_b64 s[4:5]
	s_add_u32 s4, s4, _Z17bessel_j1_forwardIdET_S0_@rel32@lo+4
	s_addc_u32 s5, s5, _Z17bessel_j1_forwardIdET_S0_@rel32@hi+12
	s_swappc_b64 s[30:31], s[4:5]
	v_mov_b32_e32 v56, v0
	v_mov_b32_e32 v57, v1
.LBB3_11:
	s_or_b64 exec, exec, s[42:43]
	v_or_b32_e32 v74, 0x100, v41
	v_cmp_gt_i32_e32 vcc, s44, v74
	s_and_saveexec_b64 s[42:43], vcc
	s_cbranch_execz .LBB3_13
; %bb.12:
	s_waitcnt vmcnt(0)
	v_mov_b32_e32 v0, v42
	v_mov_b32_e32 v1, v43
	s_getpc_b64 s[4:5]
	s_add_u32 s4, s4, _Z17bessel_j1_forwardIdET_S0_@rel32@lo+4
	s_addc_u32 s5, s5, _Z17bessel_j1_forwardIdET_S0_@rel32@hi+12
	s_swappc_b64 s[30:31], s[4:5]
	v_mov_b32_e32 v58, v0
	v_mov_b32_e32 v59, v1
.LBB3_13:
	s_or_b64 exec, exec, s[42:43]
	s_waitcnt vmcnt(0)
	v_or_b32_e32 v0, 0x200, v41
	v_cmp_gt_i32_e32 vcc, s44, v0
	s_and_saveexec_b64 s[42:43], vcc
	s_cbranch_execz .LBB3_15
; %bb.14:
	v_mov_b32_e32 v0, v46
	v_mov_b32_e32 v1, v47
	s_getpc_b64 s[4:5]
	s_add_u32 s4, s4, _Z17bessel_j1_forwardIdET_S0_@rel32@lo+4
	s_addc_u32 s5, s5, _Z17bessel_j1_forwardIdET_S0_@rel32@hi+12
	s_swappc_b64 s[30:31], s[4:5]
	v_mov_b32_e32 v60, v0
	v_mov_b32_e32 v61, v1
.LBB3_15:
	s_or_b64 exec, exec, s[42:43]
	v_or_b32_e32 v0, 0x300, v41
	v_cmp_gt_i32_e32 vcc, s44, v0
	s_and_saveexec_b64 s[42:43], vcc
	s_cbranch_execnz .LBB3_24
; %bb.16:
	s_or_b64 exec, exec, s[42:43]
	s_and_saveexec_b64 s[4:5], s[36:37]
	s_xor_b64 s[4:5], exec, s[4:5]
	s_cbranch_execnz .LBB3_25
.LBB3_17:
	s_or_b64 exec, exec, s[4:5]
	v_cmp_gt_i32_e32 vcc, s44, v41
	s_and_saveexec_b64 s[4:5], vcc
	s_cbranch_execnz .LBB3_26
.LBB3_18:
	s_or_b64 exec, exec, s[4:5]
	v_cmp_gt_i32_e32 vcc, s44, v41
	s_and_saveexec_b64 s[4:5], vcc
	s_cbranch_execnz .LBB3_27
.LBB3_19:
	s_or_b64 exec, exec, s[4:5]
	v_cmp_gt_i32_e32 vcc, s44, v41
	s_and_saveexec_b64 s[4:5], vcc
	s_cbranch_execz .LBB3_21
.LBB3_20:
	v_add_u32_e32 v0, s38, v41
	v_mov_b32_e32 v1, 0
	v_lshlrev_b64 v[0:1], 3, v[0:1]
	v_mov_b32_e32 v2, s41
	v_add_co_u32_e32 v0, vcc, s40, v0
	v_addc_co_u32_e32 v1, vcc, v2, v1, vcc
	global_store_dwordx2 v[0:1], v[62:63], off
.LBB3_21:
	s_endpgm
.LBB3_22:
	v_add_u32_e32 v4, s38, v2
	v_mov_b32_e32 v5, 0
	v_lshlrev_b64 v[4:5], 3, v[4:5]
	v_mov_b32_e32 v3, s43
	v_add_co_u32_e32 v4, vcc, s42, v4
	v_addc_co_u32_e32 v5, vcc, v3, v5, vcc
	global_load_dwordx2 v[46:47], v[4:5], off
	v_add_u32_e32 v2, 0x100, v2
	s_or_b64 exec, exec, s[4:5]
	v_cmp_gt_i32_e32 vcc, s44, v2
	s_and_saveexec_b64 s[4:5], vcc
	s_cbranch_execz .LBB3_9
.LBB3_23:
	v_add_u32_e32 v2, s38, v2
	v_mov_b32_e32 v3, 0
	v_lshlrev_b64 v[2:3], 3, v[2:3]
	v_mov_b32_e32 v4, s43
	v_add_co_u32_e32 v2, vcc, s42, v2
	v_addc_co_u32_e32 v3, vcc, v4, v3, vcc
	global_load_dwordx2 v[44:45], v[2:3], off
	s_or_b64 exec, exec, s[4:5]
                                        ; implicit-def: $vgpr56_vgpr57_vgpr58_vgpr59_vgpr60_vgpr61_vgpr62_vgpr63
	s_and_saveexec_b64 s[42:43], s[36:37]
	s_cbranch_execnz .LBB3_10
	s_branch .LBB3_11
.LBB3_24:
	v_mov_b32_e32 v0, v44
	v_mov_b32_e32 v1, v45
	s_getpc_b64 s[4:5]
	s_add_u32 s4, s4, _Z17bessel_j1_forwardIdET_S0_@rel32@lo+4
	s_addc_u32 s5, s5, _Z17bessel_j1_forwardIdET_S0_@rel32@hi+12
	s_swappc_b64 s[30:31], s[4:5]
	v_mov_b32_e32 v62, v0
	v_mov_b32_e32 v63, v1
	s_or_b64 exec, exec, s[42:43]
	s_and_saveexec_b64 s[4:5], s[36:37]
	s_xor_b64 s[4:5], exec, s[4:5]
	s_cbranch_execz .LBB3_17
.LBB3_25:
	v_mov_b32_e32 v73, 0
	v_lshlrev_b64 v[0:1], 3, v[72:73]
	v_mov_b32_e32 v2, s41
	v_add_co_u32_e32 v0, vcc, s40, v0
	v_addc_co_u32_e32 v1, vcc, v2, v1, vcc
	v_mov_b32_e32 v41, v74
	global_store_dwordx2 v[0:1], v[56:57], off
	s_or_b64 exec, exec, s[4:5]
	v_cmp_gt_i32_e32 vcc, s44, v41
	s_and_saveexec_b64 s[4:5], vcc
	s_cbranch_execz .LBB3_18
.LBB3_26:
	v_add_u32_e32 v0, s38, v41
	v_mov_b32_e32 v1, 0
	v_lshlrev_b64 v[0:1], 3, v[0:1]
	v_mov_b32_e32 v2, s41
	v_add_co_u32_e32 v0, vcc, s40, v0
	v_addc_co_u32_e32 v1, vcc, v2, v1, vcc
	v_add_u32_e32 v41, 0x100, v41
	global_store_dwordx2 v[0:1], v[58:59], off
	s_or_b64 exec, exec, s[4:5]
	v_cmp_gt_i32_e32 vcc, s44, v41
	s_and_saveexec_b64 s[4:5], vcc
	s_cbranch_execz .LBB3_19
.LBB3_27:
	v_add_u32_e32 v0, s38, v41
	v_mov_b32_e32 v1, 0
	v_lshlrev_b64 v[0:1], 3, v[0:1]
	v_mov_b32_e32 v2, s41
	v_add_co_u32_e32 v0, vcc, s40, v0
	v_addc_co_u32_e32 v1, vcc, v2, v1, vcc
	v_add_u32_e32 v41, 0x100, v41
	global_store_dwordx2 v[0:1], v[60:61], off
	s_or_b64 exec, exec, s[4:5]
	v_cmp_gt_i32_e32 vcc, s44, v41
	s_and_saveexec_b64 s[4:5], vcc
	s_cbranch_execnz .LBB3_20
	s_branch .LBB3_21
	.section	.rodata,"a",@progbits
	.p2align	6, 0x0
	.amdhsa_kernel _ZN2at6native29vectorized_elementwise_kernelILi4EZZZNS0_12_GLOBAL__N_121bessel_j1_kernel_cudaERNS_18TensorIteratorBaseEENKUlvE_clEvENKUlvE_clEvEUldE_St5arrayIPcLm2EEEEviT0_T1_
		.amdhsa_group_segment_fixed_size 0
		.amdhsa_private_segment_fixed_size 16
		.amdhsa_kernarg_size 24
		.amdhsa_user_sgpr_count 8
		.amdhsa_user_sgpr_private_segment_buffer 1
		.amdhsa_user_sgpr_dispatch_ptr 0
		.amdhsa_user_sgpr_queue_ptr 0
		.amdhsa_user_sgpr_kernarg_segment_ptr 1
		.amdhsa_user_sgpr_dispatch_id 0
		.amdhsa_user_sgpr_flat_scratch_init 1
		.amdhsa_user_sgpr_kernarg_preload_length 0
		.amdhsa_user_sgpr_kernarg_preload_offset 0
		.amdhsa_user_sgpr_private_segment_size 0
		.amdhsa_uses_dynamic_stack 1
		.amdhsa_system_sgpr_private_segment_wavefront_offset 1
		.amdhsa_system_sgpr_workgroup_id_x 1
		.amdhsa_system_sgpr_workgroup_id_y 0
		.amdhsa_system_sgpr_workgroup_id_z 0
		.amdhsa_system_sgpr_workgroup_info 0
		.amdhsa_system_vgpr_workitem_id 0
		.amdhsa_next_free_vgpr 75
		.amdhsa_next_free_sgpr 48
		.amdhsa_accum_offset 76
		.amdhsa_reserve_vcc 1
		.amdhsa_reserve_flat_scratch 1
		.amdhsa_float_round_mode_32 0
		.amdhsa_float_round_mode_16_64 0
		.amdhsa_float_denorm_mode_32 3
		.amdhsa_float_denorm_mode_16_64 3
		.amdhsa_dx10_clamp 1
		.amdhsa_ieee_mode 1
		.amdhsa_fp16_overflow 0
		.amdhsa_tg_split 0
		.amdhsa_exception_fp_ieee_invalid_op 0
		.amdhsa_exception_fp_denorm_src 0
		.amdhsa_exception_fp_ieee_div_zero 0
		.amdhsa_exception_fp_ieee_overflow 0
		.amdhsa_exception_fp_ieee_underflow 0
		.amdhsa_exception_fp_ieee_inexact 0
		.amdhsa_exception_int_div_zero 0
	.end_amdhsa_kernel
	.section	.text._ZN2at6native29vectorized_elementwise_kernelILi4EZZZNS0_12_GLOBAL__N_121bessel_j1_kernel_cudaERNS_18TensorIteratorBaseEENKUlvE_clEvENKUlvE_clEvEUldE_St5arrayIPcLm2EEEEviT0_T1_,"axG",@progbits,_ZN2at6native29vectorized_elementwise_kernelILi4EZZZNS0_12_GLOBAL__N_121bessel_j1_kernel_cudaERNS_18TensorIteratorBaseEENKUlvE_clEvENKUlvE_clEvEUldE_St5arrayIPcLm2EEEEviT0_T1_,comdat
.Lfunc_end3:
	.size	_ZN2at6native29vectorized_elementwise_kernelILi4EZZZNS0_12_GLOBAL__N_121bessel_j1_kernel_cudaERNS_18TensorIteratorBaseEENKUlvE_clEvENKUlvE_clEvEUldE_St5arrayIPcLm2EEEEviT0_T1_, .Lfunc_end3-_ZN2at6native29vectorized_elementwise_kernelILi4EZZZNS0_12_GLOBAL__N_121bessel_j1_kernel_cudaERNS_18TensorIteratorBaseEENKUlvE_clEvENKUlvE_clEvEUldE_St5arrayIPcLm2EEEEviT0_T1_
                                        ; -- End function
	.section	.AMDGPU.csdata,"",@progbits
; Kernel info:
; codeLenInByte = 1080
; NumSgprs: 54
; NumVgprs: 75
; NumAgprs: 0
; TotalNumVgprs: 75
; ScratchSize: 16
; MemoryBound: 0
; FloatMode: 240
; IeeeMode: 1
; LDSByteSize: 0 bytes/workgroup (compile time only)
; SGPRBlocks: 6
; VGPRBlocks: 9
; NumSGPRsForWavesPerEU: 54
; NumVGPRsForWavesPerEU: 75
; AccumOffset: 76
; Occupancy: 6
; WaveLimiterHint : 0
; COMPUTE_PGM_RSRC2:SCRATCH_EN: 1
; COMPUTE_PGM_RSRC2:USER_SGPR: 8
; COMPUTE_PGM_RSRC2:TRAP_HANDLER: 0
; COMPUTE_PGM_RSRC2:TGID_X_EN: 1
; COMPUTE_PGM_RSRC2:TGID_Y_EN: 0
; COMPUTE_PGM_RSRC2:TGID_Z_EN: 0
; COMPUTE_PGM_RSRC2:TIDIG_COMP_CNT: 0
; COMPUTE_PGM_RSRC3_GFX90A:ACCUM_OFFSET: 18
; COMPUTE_PGM_RSRC3_GFX90A:TG_SPLIT: 0
	.section	.text._ZN2at6native29vectorized_elementwise_kernelILi2EZZZNS0_12_GLOBAL__N_121bessel_j1_kernel_cudaERNS_18TensorIteratorBaseEENKUlvE_clEvENKUlvE_clEvEUldE_St5arrayIPcLm2EEEEviT0_T1_,"axG",@progbits,_ZN2at6native29vectorized_elementwise_kernelILi2EZZZNS0_12_GLOBAL__N_121bessel_j1_kernel_cudaERNS_18TensorIteratorBaseEENKUlvE_clEvENKUlvE_clEvEUldE_St5arrayIPcLm2EEEEviT0_T1_,comdat
	.globl	_ZN2at6native29vectorized_elementwise_kernelILi2EZZZNS0_12_GLOBAL__N_121bessel_j1_kernel_cudaERNS_18TensorIteratorBaseEENKUlvE_clEvENKUlvE_clEvEUldE_St5arrayIPcLm2EEEEviT0_T1_ ; -- Begin function _ZN2at6native29vectorized_elementwise_kernelILi2EZZZNS0_12_GLOBAL__N_121bessel_j1_kernel_cudaERNS_18TensorIteratorBaseEENKUlvE_clEvENKUlvE_clEvEUldE_St5arrayIPcLm2EEEEviT0_T1_
	.p2align	8
	.type	_ZN2at6native29vectorized_elementwise_kernelILi2EZZZNS0_12_GLOBAL__N_121bessel_j1_kernel_cudaERNS_18TensorIteratorBaseEENKUlvE_clEvENKUlvE_clEvEUldE_St5arrayIPcLm2EEEEviT0_T1_,@function
_ZN2at6native29vectorized_elementwise_kernelILi2EZZZNS0_12_GLOBAL__N_121bessel_j1_kernel_cudaERNS_18TensorIteratorBaseEENKUlvE_clEvENKUlvE_clEvEUldE_St5arrayIPcLm2EEEEviT0_T1_: ; @_ZN2at6native29vectorized_elementwise_kernelILi2EZZZNS0_12_GLOBAL__N_121bessel_j1_kernel_cudaERNS_18TensorIteratorBaseEENKUlvE_clEvENKUlvE_clEvEUldE_St5arrayIPcLm2EEEEviT0_T1_
; %bb.0:
	s_add_u32 flat_scratch_lo, s6, s9
	s_load_dword s6, s[4:5], 0x0
	s_load_dwordx4 s[40:43], s[4:5], 0x8
	s_addc_u32 flat_scratch_hi, s7, 0
	s_add_u32 s0, s0, s9
	s_addc_u32 s1, s1, 0
	s_lshl_b32 s38, s8, 10
	s_waitcnt lgkmcnt(0)
	s_sub_i32 s44, s6, s38
	v_mov_b32_e32 v41, v0
	s_cmpk_gt_i32 s44, 0x3ff
	s_mov_b64 s[4:5], -1
	s_mov_b32 s32, 0
	s_cbranch_scc0 .LBB4_2
; %bb.1:
	s_ashr_i32 s39, s38, 31
	s_lshl_b64 s[36:37], s[38:39], 3
	s_add_u32 s4, s42, s36
	s_addc_u32 s5, s43, s37
	v_lshlrev_b32_e32 v46, 4, v41
	v_mov_b32_e32 v0, s5
	v_add_co_u32_e32 v1, vcc, s4, v46
	v_addc_co_u32_e32 v2, vcc, 0, v0, vcc
	global_load_dwordx4 v[42:45], v46, s[4:5]
	v_add_co_u32_e32 v0, vcc, 0x1000, v1
	v_addc_co_u32_e32 v1, vcc, 0, v2, vcc
	global_load_dwordx4 v[56:59], v[0:1], off
	s_getpc_b64 s[46:47]
	s_add_u32 s46, s46, _Z17bessel_j1_forwardIdET_S0_@rel32@lo+4
	s_addc_u32 s47, s47, _Z17bessel_j1_forwardIdET_S0_@rel32@hi+12
	s_waitcnt vmcnt(1)
	v_mov_b32_e32 v0, v42
	v_mov_b32_e32 v1, v43
	s_swappc_b64 s[30:31], s[46:47]
	v_mov_b32_e32 v42, v0
	v_mov_b32_e32 v43, v1
	v_mov_b32_e32 v0, v44
	v_mov_b32_e32 v1, v45
	s_swappc_b64 s[30:31], s[46:47]
	v_mov_b32_e32 v44, v0
	v_mov_b32_e32 v45, v1
	;; [unrolled: 5-line block ×3, first 2 shown]
	v_mov_b32_e32 v0, v58
	v_mov_b32_e32 v1, v59
	s_swappc_b64 s[30:31], s[46:47]
	s_add_u32 s4, s40, s36
	s_addc_u32 s5, s41, s37
	v_mov_b32_e32 v58, v0
	v_mov_b32_e32 v59, v1
	;; [unrolled: 1-line block ×3, first 2 shown]
	v_add_co_u32_e32 v1, vcc, s4, v46
	v_addc_co_u32_e32 v2, vcc, 0, v0, vcc
	v_add_co_u32_e32 v0, vcc, 0x1000, v1
	v_addc_co_u32_e32 v1, vcc, 0, v2, vcc
	global_store_dwordx4 v46, v[42:45], s[4:5]
	global_store_dwordx4 v[0:1], v[56:59], off
	s_mov_b64 s[4:5], 0
.LBB4_2:
	s_andn2_b64 vcc, exec, s[4:5]
	s_cbranch_vccnz .LBB4_21
; %bb.3:
	v_pk_mov_b32 v[42:43], 0, 0
	v_cmp_gt_i32_e64 s[36:37], s44, v41
	v_or_b32_e32 v72, s38, v41
	v_pk_mov_b32 v[0:1], v[42:43], v[42:43] op_sel:[0,1]
	v_mov_b32_e32 v2, v41
	s_and_saveexec_b64 s[4:5], s[36:37]
	s_cbranch_execz .LBB4_5
; %bb.4:
	v_mov_b32_e32 v73, 0
	v_lshlrev_b64 v[0:1], 3, v[72:73]
	v_mov_b32_e32 v2, s43
	v_add_co_u32_e32 v0, vcc, s42, v0
	v_addc_co_u32_e32 v1, vcc, v2, v1, vcc
	global_load_dwordx2 v[0:1], v[0:1], off
	v_or_b32_e32 v2, 0x100, v41
.LBB4_5:
	s_or_b64 exec, exec, s[4:5]
	v_cmp_gt_i32_e32 vcc, s44, v2
	s_and_saveexec_b64 s[4:5], vcc
	s_cbranch_execz .LBB4_7
; %bb.6:
	v_add_u32_e32 v4, s38, v2
	v_mov_b32_e32 v5, 0
	v_lshlrev_b64 v[4:5], 3, v[4:5]
	v_mov_b32_e32 v3, s43
	v_add_co_u32_e32 v4, vcc, s42, v4
	v_addc_co_u32_e32 v5, vcc, v3, v5, vcc
	global_load_dwordx2 v[42:43], v[4:5], off
	v_add_u32_e32 v2, 0x100, v2
.LBB4_7:
	s_or_b64 exec, exec, s[4:5]
	v_pk_mov_b32 v[44:45], 0, 0
	v_cmp_gt_i32_e32 vcc, s44, v2
	v_pk_mov_b32 v[46:47], v[44:45], v[44:45] op_sel:[0,1]
	s_and_saveexec_b64 s[4:5], vcc
	s_cbranch_execnz .LBB4_22
; %bb.8:
	s_or_b64 exec, exec, s[4:5]
	v_cmp_gt_i32_e32 vcc, s44, v2
	s_and_saveexec_b64 s[4:5], vcc
	s_cbranch_execnz .LBB4_23
.LBB4_9:
	s_or_b64 exec, exec, s[4:5]
                                        ; implicit-def: $vgpr56_vgpr57_vgpr58_vgpr59_vgpr60_vgpr61_vgpr62_vgpr63
	s_and_saveexec_b64 s[42:43], s[36:37]
	s_cbranch_execz .LBB4_11
.LBB4_10:
	s_getpc_b64 s[4:5]
	s_add_u32 s4, s4, _Z17bessel_j1_forwardIdET_S0_@rel32@lo+4
	s_addc_u32 s5, s5, _Z17bessel_j1_forwardIdET_S0_@rel32@hi+12
	s_swappc_b64 s[30:31], s[4:5]
	v_mov_b32_e32 v56, v0
	v_mov_b32_e32 v57, v1
.LBB4_11:
	s_or_b64 exec, exec, s[42:43]
	v_or_b32_e32 v74, 0x100, v41
	v_cmp_gt_i32_e32 vcc, s44, v74
	s_and_saveexec_b64 s[42:43], vcc
	s_cbranch_execz .LBB4_13
; %bb.12:
	s_waitcnt vmcnt(0)
	v_mov_b32_e32 v0, v42
	v_mov_b32_e32 v1, v43
	s_getpc_b64 s[4:5]
	s_add_u32 s4, s4, _Z17bessel_j1_forwardIdET_S0_@rel32@lo+4
	s_addc_u32 s5, s5, _Z17bessel_j1_forwardIdET_S0_@rel32@hi+12
	s_swappc_b64 s[30:31], s[4:5]
	v_mov_b32_e32 v58, v0
	v_mov_b32_e32 v59, v1
.LBB4_13:
	s_or_b64 exec, exec, s[42:43]
	s_waitcnt vmcnt(0)
	v_or_b32_e32 v0, 0x200, v41
	v_cmp_gt_i32_e32 vcc, s44, v0
	s_and_saveexec_b64 s[42:43], vcc
	s_cbranch_execz .LBB4_15
; %bb.14:
	v_mov_b32_e32 v0, v46
	v_mov_b32_e32 v1, v47
	s_getpc_b64 s[4:5]
	s_add_u32 s4, s4, _Z17bessel_j1_forwardIdET_S0_@rel32@lo+4
	s_addc_u32 s5, s5, _Z17bessel_j1_forwardIdET_S0_@rel32@hi+12
	s_swappc_b64 s[30:31], s[4:5]
	v_mov_b32_e32 v60, v0
	v_mov_b32_e32 v61, v1
.LBB4_15:
	s_or_b64 exec, exec, s[42:43]
	v_or_b32_e32 v0, 0x300, v41
	v_cmp_gt_i32_e32 vcc, s44, v0
	s_and_saveexec_b64 s[42:43], vcc
	s_cbranch_execnz .LBB4_24
; %bb.16:
	s_or_b64 exec, exec, s[42:43]
	s_and_saveexec_b64 s[4:5], s[36:37]
	s_xor_b64 s[4:5], exec, s[4:5]
	s_cbranch_execnz .LBB4_25
.LBB4_17:
	s_or_b64 exec, exec, s[4:5]
	v_cmp_gt_i32_e32 vcc, s44, v41
	s_and_saveexec_b64 s[4:5], vcc
	s_cbranch_execnz .LBB4_26
.LBB4_18:
	s_or_b64 exec, exec, s[4:5]
	v_cmp_gt_i32_e32 vcc, s44, v41
	s_and_saveexec_b64 s[4:5], vcc
	s_cbranch_execnz .LBB4_27
.LBB4_19:
	s_or_b64 exec, exec, s[4:5]
	v_cmp_gt_i32_e32 vcc, s44, v41
	s_and_saveexec_b64 s[4:5], vcc
	s_cbranch_execz .LBB4_21
.LBB4_20:
	v_add_u32_e32 v0, s38, v41
	v_mov_b32_e32 v1, 0
	v_lshlrev_b64 v[0:1], 3, v[0:1]
	v_mov_b32_e32 v2, s41
	v_add_co_u32_e32 v0, vcc, s40, v0
	v_addc_co_u32_e32 v1, vcc, v2, v1, vcc
	global_store_dwordx2 v[0:1], v[62:63], off
.LBB4_21:
	s_endpgm
.LBB4_22:
	v_add_u32_e32 v4, s38, v2
	v_mov_b32_e32 v5, 0
	v_lshlrev_b64 v[4:5], 3, v[4:5]
	v_mov_b32_e32 v3, s43
	v_add_co_u32_e32 v4, vcc, s42, v4
	v_addc_co_u32_e32 v5, vcc, v3, v5, vcc
	global_load_dwordx2 v[46:47], v[4:5], off
	v_add_u32_e32 v2, 0x100, v2
	s_or_b64 exec, exec, s[4:5]
	v_cmp_gt_i32_e32 vcc, s44, v2
	s_and_saveexec_b64 s[4:5], vcc
	s_cbranch_execz .LBB4_9
.LBB4_23:
	v_add_u32_e32 v2, s38, v2
	v_mov_b32_e32 v3, 0
	v_lshlrev_b64 v[2:3], 3, v[2:3]
	v_mov_b32_e32 v4, s43
	v_add_co_u32_e32 v2, vcc, s42, v2
	v_addc_co_u32_e32 v3, vcc, v4, v3, vcc
	global_load_dwordx2 v[44:45], v[2:3], off
	s_or_b64 exec, exec, s[4:5]
                                        ; implicit-def: $vgpr56_vgpr57_vgpr58_vgpr59_vgpr60_vgpr61_vgpr62_vgpr63
	s_and_saveexec_b64 s[42:43], s[36:37]
	s_cbranch_execnz .LBB4_10
	s_branch .LBB4_11
.LBB4_24:
	v_mov_b32_e32 v0, v44
	v_mov_b32_e32 v1, v45
	s_getpc_b64 s[4:5]
	s_add_u32 s4, s4, _Z17bessel_j1_forwardIdET_S0_@rel32@lo+4
	s_addc_u32 s5, s5, _Z17bessel_j1_forwardIdET_S0_@rel32@hi+12
	s_swappc_b64 s[30:31], s[4:5]
	v_mov_b32_e32 v62, v0
	v_mov_b32_e32 v63, v1
	s_or_b64 exec, exec, s[42:43]
	s_and_saveexec_b64 s[4:5], s[36:37]
	s_xor_b64 s[4:5], exec, s[4:5]
	s_cbranch_execz .LBB4_17
.LBB4_25:
	v_mov_b32_e32 v73, 0
	v_lshlrev_b64 v[0:1], 3, v[72:73]
	v_mov_b32_e32 v2, s41
	v_add_co_u32_e32 v0, vcc, s40, v0
	v_addc_co_u32_e32 v1, vcc, v2, v1, vcc
	v_mov_b32_e32 v41, v74
	global_store_dwordx2 v[0:1], v[56:57], off
	s_or_b64 exec, exec, s[4:5]
	v_cmp_gt_i32_e32 vcc, s44, v41
	s_and_saveexec_b64 s[4:5], vcc
	s_cbranch_execz .LBB4_18
.LBB4_26:
	v_add_u32_e32 v0, s38, v41
	v_mov_b32_e32 v1, 0
	v_lshlrev_b64 v[0:1], 3, v[0:1]
	v_mov_b32_e32 v2, s41
	v_add_co_u32_e32 v0, vcc, s40, v0
	v_addc_co_u32_e32 v1, vcc, v2, v1, vcc
	v_add_u32_e32 v41, 0x100, v41
	global_store_dwordx2 v[0:1], v[58:59], off
	s_or_b64 exec, exec, s[4:5]
	v_cmp_gt_i32_e32 vcc, s44, v41
	s_and_saveexec_b64 s[4:5], vcc
	s_cbranch_execz .LBB4_19
.LBB4_27:
	v_add_u32_e32 v0, s38, v41
	v_mov_b32_e32 v1, 0
	v_lshlrev_b64 v[0:1], 3, v[0:1]
	v_mov_b32_e32 v2, s41
	v_add_co_u32_e32 v0, vcc, s40, v0
	v_addc_co_u32_e32 v1, vcc, v2, v1, vcc
	v_add_u32_e32 v41, 0x100, v41
	global_store_dwordx2 v[0:1], v[60:61], off
	s_or_b64 exec, exec, s[4:5]
	v_cmp_gt_i32_e32 vcc, s44, v41
	s_and_saveexec_b64 s[4:5], vcc
	s_cbranch_execnz .LBB4_20
	s_branch .LBB4_21
	.section	.rodata,"a",@progbits
	.p2align	6, 0x0
	.amdhsa_kernel _ZN2at6native29vectorized_elementwise_kernelILi2EZZZNS0_12_GLOBAL__N_121bessel_j1_kernel_cudaERNS_18TensorIteratorBaseEENKUlvE_clEvENKUlvE_clEvEUldE_St5arrayIPcLm2EEEEviT0_T1_
		.amdhsa_group_segment_fixed_size 0
		.amdhsa_private_segment_fixed_size 16
		.amdhsa_kernarg_size 24
		.amdhsa_user_sgpr_count 8
		.amdhsa_user_sgpr_private_segment_buffer 1
		.amdhsa_user_sgpr_dispatch_ptr 0
		.amdhsa_user_sgpr_queue_ptr 0
		.amdhsa_user_sgpr_kernarg_segment_ptr 1
		.amdhsa_user_sgpr_dispatch_id 0
		.amdhsa_user_sgpr_flat_scratch_init 1
		.amdhsa_user_sgpr_kernarg_preload_length 0
		.amdhsa_user_sgpr_kernarg_preload_offset 0
		.amdhsa_user_sgpr_private_segment_size 0
		.amdhsa_uses_dynamic_stack 1
		.amdhsa_system_sgpr_private_segment_wavefront_offset 1
		.amdhsa_system_sgpr_workgroup_id_x 1
		.amdhsa_system_sgpr_workgroup_id_y 0
		.amdhsa_system_sgpr_workgroup_id_z 0
		.amdhsa_system_sgpr_workgroup_info 0
		.amdhsa_system_vgpr_workitem_id 0
		.amdhsa_next_free_vgpr 75
		.amdhsa_next_free_sgpr 48
		.amdhsa_accum_offset 76
		.amdhsa_reserve_vcc 1
		.amdhsa_reserve_flat_scratch 1
		.amdhsa_float_round_mode_32 0
		.amdhsa_float_round_mode_16_64 0
		.amdhsa_float_denorm_mode_32 3
		.amdhsa_float_denorm_mode_16_64 3
		.amdhsa_dx10_clamp 1
		.amdhsa_ieee_mode 1
		.amdhsa_fp16_overflow 0
		.amdhsa_tg_split 0
		.amdhsa_exception_fp_ieee_invalid_op 0
		.amdhsa_exception_fp_denorm_src 0
		.amdhsa_exception_fp_ieee_div_zero 0
		.amdhsa_exception_fp_ieee_overflow 0
		.amdhsa_exception_fp_ieee_underflow 0
		.amdhsa_exception_fp_ieee_inexact 0
		.amdhsa_exception_int_div_zero 0
	.end_amdhsa_kernel
	.section	.text._ZN2at6native29vectorized_elementwise_kernelILi2EZZZNS0_12_GLOBAL__N_121bessel_j1_kernel_cudaERNS_18TensorIteratorBaseEENKUlvE_clEvENKUlvE_clEvEUldE_St5arrayIPcLm2EEEEviT0_T1_,"axG",@progbits,_ZN2at6native29vectorized_elementwise_kernelILi2EZZZNS0_12_GLOBAL__N_121bessel_j1_kernel_cudaERNS_18TensorIteratorBaseEENKUlvE_clEvENKUlvE_clEvEUldE_St5arrayIPcLm2EEEEviT0_T1_,comdat
.Lfunc_end4:
	.size	_ZN2at6native29vectorized_elementwise_kernelILi2EZZZNS0_12_GLOBAL__N_121bessel_j1_kernel_cudaERNS_18TensorIteratorBaseEENKUlvE_clEvENKUlvE_clEvEUldE_St5arrayIPcLm2EEEEviT0_T1_, .Lfunc_end4-_ZN2at6native29vectorized_elementwise_kernelILi2EZZZNS0_12_GLOBAL__N_121bessel_j1_kernel_cudaERNS_18TensorIteratorBaseEENKUlvE_clEvENKUlvE_clEvEUldE_St5arrayIPcLm2EEEEviT0_T1_
                                        ; -- End function
	.section	.AMDGPU.csdata,"",@progbits
; Kernel info:
; codeLenInByte = 1128
; NumSgprs: 54
; NumVgprs: 75
; NumAgprs: 0
; TotalNumVgprs: 75
; ScratchSize: 16
; MemoryBound: 0
; FloatMode: 240
; IeeeMode: 1
; LDSByteSize: 0 bytes/workgroup (compile time only)
; SGPRBlocks: 6
; VGPRBlocks: 9
; NumSGPRsForWavesPerEU: 54
; NumVGPRsForWavesPerEU: 75
; AccumOffset: 76
; Occupancy: 6
; WaveLimiterHint : 1
; COMPUTE_PGM_RSRC2:SCRATCH_EN: 1
; COMPUTE_PGM_RSRC2:USER_SGPR: 8
; COMPUTE_PGM_RSRC2:TRAP_HANDLER: 0
; COMPUTE_PGM_RSRC2:TGID_X_EN: 1
; COMPUTE_PGM_RSRC2:TGID_Y_EN: 0
; COMPUTE_PGM_RSRC2:TGID_Z_EN: 0
; COMPUTE_PGM_RSRC2:TIDIG_COMP_CNT: 0
; COMPUTE_PGM_RSRC3_GFX90A:ACCUM_OFFSET: 18
; COMPUTE_PGM_RSRC3_GFX90A:TG_SPLIT: 0
	.section	.text._ZN2at6native27unrolled_elementwise_kernelIZZZNS0_12_GLOBAL__N_121bessel_j1_kernel_cudaERNS_18TensorIteratorBaseEENKUlvE_clEvENKUlvE_clEvEUldE_St5arrayIPcLm2EELi4E23TrivialOffsetCalculatorILi1EjESC_NS0_6memory15LoadWithoutCastENSD_16StoreWithoutCastEEEviT_T0_T2_T3_T4_T5_,"axG",@progbits,_ZN2at6native27unrolled_elementwise_kernelIZZZNS0_12_GLOBAL__N_121bessel_j1_kernel_cudaERNS_18TensorIteratorBaseEENKUlvE_clEvENKUlvE_clEvEUldE_St5arrayIPcLm2EELi4E23TrivialOffsetCalculatorILi1EjESC_NS0_6memory15LoadWithoutCastENSD_16StoreWithoutCastEEEviT_T0_T2_T3_T4_T5_,comdat
	.globl	_ZN2at6native27unrolled_elementwise_kernelIZZZNS0_12_GLOBAL__N_121bessel_j1_kernel_cudaERNS_18TensorIteratorBaseEENKUlvE_clEvENKUlvE_clEvEUldE_St5arrayIPcLm2EELi4E23TrivialOffsetCalculatorILi1EjESC_NS0_6memory15LoadWithoutCastENSD_16StoreWithoutCastEEEviT_T0_T2_T3_T4_T5_ ; -- Begin function _ZN2at6native27unrolled_elementwise_kernelIZZZNS0_12_GLOBAL__N_121bessel_j1_kernel_cudaERNS_18TensorIteratorBaseEENKUlvE_clEvENKUlvE_clEvEUldE_St5arrayIPcLm2EELi4E23TrivialOffsetCalculatorILi1EjESC_NS0_6memory15LoadWithoutCastENSD_16StoreWithoutCastEEEviT_T0_T2_T3_T4_T5_
	.p2align	8
	.type	_ZN2at6native27unrolled_elementwise_kernelIZZZNS0_12_GLOBAL__N_121bessel_j1_kernel_cudaERNS_18TensorIteratorBaseEENKUlvE_clEvENKUlvE_clEvEUldE_St5arrayIPcLm2EELi4E23TrivialOffsetCalculatorILi1EjESC_NS0_6memory15LoadWithoutCastENSD_16StoreWithoutCastEEEviT_T0_T2_T3_T4_T5_,@function
_ZN2at6native27unrolled_elementwise_kernelIZZZNS0_12_GLOBAL__N_121bessel_j1_kernel_cudaERNS_18TensorIteratorBaseEENKUlvE_clEvENKUlvE_clEvEUldE_St5arrayIPcLm2EELi4E23TrivialOffsetCalculatorILi1EjESC_NS0_6memory15LoadWithoutCastENSD_16StoreWithoutCastEEEviT_T0_T2_T3_T4_T5_: ; @_ZN2at6native27unrolled_elementwise_kernelIZZZNS0_12_GLOBAL__N_121bessel_j1_kernel_cudaERNS_18TensorIteratorBaseEENKUlvE_clEvENKUlvE_clEvEUldE_St5arrayIPcLm2EELi4E23TrivialOffsetCalculatorILi1EjESC_NS0_6memory15LoadWithoutCastENSD_16StoreWithoutCastEEEviT_T0_T2_T3_T4_T5_
; %bb.0:
	s_add_u32 flat_scratch_lo, s6, s9
	s_load_dword s6, s[4:5], 0x0
	s_load_dwordx4 s[40:43], s[4:5], 0x8
	s_addc_u32 flat_scratch_hi, s7, 0
	s_add_u32 s0, s0, s9
	s_addc_u32 s1, s1, 0
	s_lshl_b32 s44, s8, 10
	v_mov_b32_e32 v41, v0
	s_waitcnt lgkmcnt(0)
	s_sub_i32 s45, s6, s44
	v_pk_mov_b32 v[42:43], 0, 0
	v_cmp_gt_i32_e64 s[36:37], s45, v41
	v_or_b32_e32 v72, s44, v41
	v_pk_mov_b32 v[0:1], v[42:43], v[42:43] op_sel:[0,1]
	v_mov_b32_e32 v2, v41
	s_mov_b32 s32, 0
	s_and_saveexec_b64 s[4:5], s[36:37]
	s_cbranch_execz .LBB5_2
; %bb.1:
	v_mov_b32_e32 v73, 0
	v_lshlrev_b64 v[0:1], 3, v[72:73]
	v_mov_b32_e32 v2, s43
	v_add_co_u32_e32 v0, vcc, s42, v0
	v_addc_co_u32_e32 v1, vcc, v2, v1, vcc
	global_load_dwordx2 v[0:1], v[0:1], off
	v_or_b32_e32 v2, 0x100, v41
.LBB5_2:
	s_or_b64 exec, exec, s[4:5]
	v_cmp_gt_i32_e32 vcc, s45, v2
	s_and_saveexec_b64 s[4:5], vcc
	s_cbranch_execz .LBB5_4
; %bb.3:
	v_add_u32_e32 v4, s44, v2
	v_mov_b32_e32 v5, 0
	v_lshlrev_b64 v[4:5], 3, v[4:5]
	v_mov_b32_e32 v3, s43
	v_add_co_u32_e32 v4, vcc, s42, v4
	v_addc_co_u32_e32 v5, vcc, v3, v5, vcc
	global_load_dwordx2 v[42:43], v[4:5], off
	v_add_u32_e32 v2, 0x100, v2
.LBB5_4:
	s_or_b64 exec, exec, s[4:5]
	v_pk_mov_b32 v[44:45], 0, 0
	v_cmp_gt_i32_e32 vcc, s45, v2
	v_pk_mov_b32 v[46:47], v[44:45], v[44:45] op_sel:[0,1]
	s_and_saveexec_b64 s[4:5], vcc
	s_cbranch_execnz .LBB5_18
; %bb.5:
	s_or_b64 exec, exec, s[4:5]
	v_cmp_gt_i32_e32 vcc, s45, v2
	s_and_saveexec_b64 s[4:5], vcc
	s_cbranch_execnz .LBB5_19
.LBB5_6:
	s_or_b64 exec, exec, s[4:5]
                                        ; implicit-def: $vgpr56_vgpr57_vgpr58_vgpr59_vgpr60_vgpr61_vgpr62_vgpr63
	s_and_saveexec_b64 s[38:39], s[36:37]
	s_cbranch_execz .LBB5_8
.LBB5_7:
	s_getpc_b64 s[4:5]
	s_add_u32 s4, s4, _Z17bessel_j1_forwardIdET_S0_@rel32@lo+4
	s_addc_u32 s5, s5, _Z17bessel_j1_forwardIdET_S0_@rel32@hi+12
	s_swappc_b64 s[30:31], s[4:5]
	v_mov_b32_e32 v56, v0
	v_mov_b32_e32 v57, v1
.LBB5_8:
	s_or_b64 exec, exec, s[38:39]
	v_or_b32_e32 v74, 0x100, v41
	v_cmp_gt_i32_e32 vcc, s45, v74
	s_and_saveexec_b64 s[38:39], vcc
	s_cbranch_execz .LBB5_10
; %bb.9:
	s_waitcnt vmcnt(0)
	v_mov_b32_e32 v0, v42
	v_mov_b32_e32 v1, v43
	s_getpc_b64 s[4:5]
	s_add_u32 s4, s4, _Z17bessel_j1_forwardIdET_S0_@rel32@lo+4
	s_addc_u32 s5, s5, _Z17bessel_j1_forwardIdET_S0_@rel32@hi+12
	s_swappc_b64 s[30:31], s[4:5]
	v_mov_b32_e32 v58, v0
	v_mov_b32_e32 v59, v1
.LBB5_10:
	s_or_b64 exec, exec, s[38:39]
	s_waitcnt vmcnt(0)
	v_or_b32_e32 v0, 0x200, v41
	v_cmp_gt_i32_e32 vcc, s45, v0
	s_and_saveexec_b64 s[38:39], vcc
	s_cbranch_execz .LBB5_12
; %bb.11:
	v_mov_b32_e32 v0, v46
	v_mov_b32_e32 v1, v47
	s_getpc_b64 s[4:5]
	s_add_u32 s4, s4, _Z17bessel_j1_forwardIdET_S0_@rel32@lo+4
	s_addc_u32 s5, s5, _Z17bessel_j1_forwardIdET_S0_@rel32@hi+12
	s_swappc_b64 s[30:31], s[4:5]
	v_mov_b32_e32 v60, v0
	v_mov_b32_e32 v61, v1
.LBB5_12:
	s_or_b64 exec, exec, s[38:39]
	v_or_b32_e32 v0, 0x300, v41
	v_cmp_gt_i32_e32 vcc, s45, v0
	s_and_saveexec_b64 s[38:39], vcc
	s_cbranch_execnz .LBB5_20
; %bb.13:
	s_or_b64 exec, exec, s[38:39]
	s_and_saveexec_b64 s[4:5], s[36:37]
	s_xor_b64 s[4:5], exec, s[4:5]
	s_cbranch_execnz .LBB5_21
.LBB5_14:
	s_or_b64 exec, exec, s[4:5]
	v_cmp_gt_i32_e32 vcc, s45, v41
	s_and_saveexec_b64 s[4:5], vcc
	s_cbranch_execnz .LBB5_22
.LBB5_15:
	s_or_b64 exec, exec, s[4:5]
	v_cmp_gt_i32_e32 vcc, s45, v41
	s_and_saveexec_b64 s[4:5], vcc
	s_cbranch_execnz .LBB5_23
.LBB5_16:
	s_or_b64 exec, exec, s[4:5]
	v_cmp_gt_i32_e32 vcc, s45, v41
	s_and_saveexec_b64 s[4:5], vcc
	s_cbranch_execnz .LBB5_24
.LBB5_17:
	s_endpgm
.LBB5_18:
	v_add_u32_e32 v4, s44, v2
	v_mov_b32_e32 v5, 0
	v_lshlrev_b64 v[4:5], 3, v[4:5]
	v_mov_b32_e32 v3, s43
	v_add_co_u32_e32 v4, vcc, s42, v4
	v_addc_co_u32_e32 v5, vcc, v3, v5, vcc
	global_load_dwordx2 v[46:47], v[4:5], off
	v_add_u32_e32 v2, 0x100, v2
	s_or_b64 exec, exec, s[4:5]
	v_cmp_gt_i32_e32 vcc, s45, v2
	s_and_saveexec_b64 s[4:5], vcc
	s_cbranch_execz .LBB5_6
.LBB5_19:
	v_add_u32_e32 v2, s44, v2
	v_mov_b32_e32 v3, 0
	v_lshlrev_b64 v[2:3], 3, v[2:3]
	v_mov_b32_e32 v4, s43
	v_add_co_u32_e32 v2, vcc, s42, v2
	v_addc_co_u32_e32 v3, vcc, v4, v3, vcc
	global_load_dwordx2 v[44:45], v[2:3], off
	s_or_b64 exec, exec, s[4:5]
                                        ; implicit-def: $vgpr56_vgpr57_vgpr58_vgpr59_vgpr60_vgpr61_vgpr62_vgpr63
	s_and_saveexec_b64 s[38:39], s[36:37]
	s_cbranch_execnz .LBB5_7
	s_branch .LBB5_8
.LBB5_20:
	v_mov_b32_e32 v0, v44
	v_mov_b32_e32 v1, v45
	s_getpc_b64 s[4:5]
	s_add_u32 s4, s4, _Z17bessel_j1_forwardIdET_S0_@rel32@lo+4
	s_addc_u32 s5, s5, _Z17bessel_j1_forwardIdET_S0_@rel32@hi+12
	s_swappc_b64 s[30:31], s[4:5]
	v_mov_b32_e32 v62, v0
	v_mov_b32_e32 v63, v1
	s_or_b64 exec, exec, s[38:39]
	s_and_saveexec_b64 s[4:5], s[36:37]
	s_xor_b64 s[4:5], exec, s[4:5]
	s_cbranch_execz .LBB5_14
.LBB5_21:
	v_mov_b32_e32 v73, 0
	v_lshlrev_b64 v[0:1], 3, v[72:73]
	v_mov_b32_e32 v2, s41
	v_add_co_u32_e32 v0, vcc, s40, v0
	v_addc_co_u32_e32 v1, vcc, v2, v1, vcc
	v_mov_b32_e32 v41, v74
	global_store_dwordx2 v[0:1], v[56:57], off
	s_or_b64 exec, exec, s[4:5]
	v_cmp_gt_i32_e32 vcc, s45, v41
	s_and_saveexec_b64 s[4:5], vcc
	s_cbranch_execz .LBB5_15
.LBB5_22:
	v_add_u32_e32 v0, s44, v41
	v_mov_b32_e32 v1, 0
	v_lshlrev_b64 v[0:1], 3, v[0:1]
	v_add_u32_e32 v2, 0x100, v41
	v_mov_b32_e32 v3, s41
	v_add_co_u32_e32 v0, vcc, s40, v0
	v_addc_co_u32_e32 v1, vcc, v3, v1, vcc
	v_mov_b32_e32 v41, v2
	global_store_dwordx2 v[0:1], v[58:59], off
	s_or_b64 exec, exec, s[4:5]
	v_cmp_gt_i32_e32 vcc, s45, v41
	s_and_saveexec_b64 s[4:5], vcc
	s_cbranch_execz .LBB5_16
.LBB5_23:
	v_add_u32_e32 v0, s44, v41
	v_mov_b32_e32 v1, 0
	v_lshlrev_b64 v[0:1], 3, v[0:1]
	v_add_u32_e32 v2, 0x100, v41
	v_mov_b32_e32 v3, s41
	v_add_co_u32_e32 v0, vcc, s40, v0
	v_addc_co_u32_e32 v1, vcc, v3, v1, vcc
	v_mov_b32_e32 v41, v2
	global_store_dwordx2 v[0:1], v[60:61], off
	s_or_b64 exec, exec, s[4:5]
	v_cmp_gt_i32_e32 vcc, s45, v41
	s_and_saveexec_b64 s[4:5], vcc
	s_cbranch_execz .LBB5_17
.LBB5_24:
	v_add_u32_e32 v0, s44, v41
	v_mov_b32_e32 v1, 0
	v_lshlrev_b64 v[0:1], 3, v[0:1]
	v_mov_b32_e32 v2, s41
	v_add_co_u32_e32 v0, vcc, s40, v0
	v_addc_co_u32_e32 v1, vcc, v2, v1, vcc
	global_store_dwordx2 v[0:1], v[62:63], off
	s_endpgm
	.section	.rodata,"a",@progbits
	.p2align	6, 0x0
	.amdhsa_kernel _ZN2at6native27unrolled_elementwise_kernelIZZZNS0_12_GLOBAL__N_121bessel_j1_kernel_cudaERNS_18TensorIteratorBaseEENKUlvE_clEvENKUlvE_clEvEUldE_St5arrayIPcLm2EELi4E23TrivialOffsetCalculatorILi1EjESC_NS0_6memory15LoadWithoutCastENSD_16StoreWithoutCastEEEviT_T0_T2_T3_T4_T5_
		.amdhsa_group_segment_fixed_size 0
		.amdhsa_private_segment_fixed_size 16
		.amdhsa_kernarg_size 28
		.amdhsa_user_sgpr_count 8
		.amdhsa_user_sgpr_private_segment_buffer 1
		.amdhsa_user_sgpr_dispatch_ptr 0
		.amdhsa_user_sgpr_queue_ptr 0
		.amdhsa_user_sgpr_kernarg_segment_ptr 1
		.amdhsa_user_sgpr_dispatch_id 0
		.amdhsa_user_sgpr_flat_scratch_init 1
		.amdhsa_user_sgpr_kernarg_preload_length 0
		.amdhsa_user_sgpr_kernarg_preload_offset 0
		.amdhsa_user_sgpr_private_segment_size 0
		.amdhsa_uses_dynamic_stack 1
		.amdhsa_system_sgpr_private_segment_wavefront_offset 1
		.amdhsa_system_sgpr_workgroup_id_x 1
		.amdhsa_system_sgpr_workgroup_id_y 0
		.amdhsa_system_sgpr_workgroup_id_z 0
		.amdhsa_system_sgpr_workgroup_info 0
		.amdhsa_system_vgpr_workitem_id 0
		.amdhsa_next_free_vgpr 75
		.amdhsa_next_free_sgpr 46
		.amdhsa_accum_offset 76
		.amdhsa_reserve_vcc 1
		.amdhsa_reserve_flat_scratch 1
		.amdhsa_float_round_mode_32 0
		.amdhsa_float_round_mode_16_64 0
		.amdhsa_float_denorm_mode_32 3
		.amdhsa_float_denorm_mode_16_64 3
		.amdhsa_dx10_clamp 1
		.amdhsa_ieee_mode 1
		.amdhsa_fp16_overflow 0
		.amdhsa_tg_split 0
		.amdhsa_exception_fp_ieee_invalid_op 0
		.amdhsa_exception_fp_denorm_src 0
		.amdhsa_exception_fp_ieee_div_zero 0
		.amdhsa_exception_fp_ieee_overflow 0
		.amdhsa_exception_fp_ieee_underflow 0
		.amdhsa_exception_fp_ieee_inexact 0
		.amdhsa_exception_int_div_zero 0
	.end_amdhsa_kernel
	.section	.text._ZN2at6native27unrolled_elementwise_kernelIZZZNS0_12_GLOBAL__N_121bessel_j1_kernel_cudaERNS_18TensorIteratorBaseEENKUlvE_clEvENKUlvE_clEvEUldE_St5arrayIPcLm2EELi4E23TrivialOffsetCalculatorILi1EjESC_NS0_6memory15LoadWithoutCastENSD_16StoreWithoutCastEEEviT_T0_T2_T3_T4_T5_,"axG",@progbits,_ZN2at6native27unrolled_elementwise_kernelIZZZNS0_12_GLOBAL__N_121bessel_j1_kernel_cudaERNS_18TensorIteratorBaseEENKUlvE_clEvENKUlvE_clEvEUldE_St5arrayIPcLm2EELi4E23TrivialOffsetCalculatorILi1EjESC_NS0_6memory15LoadWithoutCastENSD_16StoreWithoutCastEEEviT_T0_T2_T3_T4_T5_,comdat
.Lfunc_end5:
	.size	_ZN2at6native27unrolled_elementwise_kernelIZZZNS0_12_GLOBAL__N_121bessel_j1_kernel_cudaERNS_18TensorIteratorBaseEENKUlvE_clEvENKUlvE_clEvEUldE_St5arrayIPcLm2EELi4E23TrivialOffsetCalculatorILi1EjESC_NS0_6memory15LoadWithoutCastENSD_16StoreWithoutCastEEEviT_T0_T2_T3_T4_T5_, .Lfunc_end5-_ZN2at6native27unrolled_elementwise_kernelIZZZNS0_12_GLOBAL__N_121bessel_j1_kernel_cudaERNS_18TensorIteratorBaseEENKUlvE_clEvENKUlvE_clEvEUldE_St5arrayIPcLm2EELi4E23TrivialOffsetCalculatorILi1EjESC_NS0_6memory15LoadWithoutCastENSD_16StoreWithoutCastEEEviT_T0_T2_T3_T4_T5_
                                        ; -- End function
	.section	.AMDGPU.csdata,"",@progbits
; Kernel info:
; codeLenInByte = 900
; NumSgprs: 52
; NumVgprs: 75
; NumAgprs: 0
; TotalNumVgprs: 75
; ScratchSize: 16
; MemoryBound: 0
; FloatMode: 240
; IeeeMode: 1
; LDSByteSize: 0 bytes/workgroup (compile time only)
; SGPRBlocks: 6
; VGPRBlocks: 9
; NumSGPRsForWavesPerEU: 52
; NumVGPRsForWavesPerEU: 75
; AccumOffset: 76
; Occupancy: 6
; WaveLimiterHint : 0
; COMPUTE_PGM_RSRC2:SCRATCH_EN: 1
; COMPUTE_PGM_RSRC2:USER_SGPR: 8
; COMPUTE_PGM_RSRC2:TRAP_HANDLER: 0
; COMPUTE_PGM_RSRC2:TGID_X_EN: 1
; COMPUTE_PGM_RSRC2:TGID_Y_EN: 0
; COMPUTE_PGM_RSRC2:TGID_Z_EN: 0
; COMPUTE_PGM_RSRC2:TIDIG_COMP_CNT: 0
; COMPUTE_PGM_RSRC3_GFX90A:ACCUM_OFFSET: 18
; COMPUTE_PGM_RSRC3_GFX90A:TG_SPLIT: 0
	.section	.text._ZN2at6native32elementwise_kernel_manual_unrollILi128ELi4EZNS0_22gpu_kernel_impl_nocastIZZZNS0_12_GLOBAL__N_121bessel_j1_kernel_cudaERNS_18TensorIteratorBaseEENKUlvE_clEvENKUlvE_clEvEUldE_EEvS5_RKT_EUlibE_EEviT1_,"axG",@progbits,_ZN2at6native32elementwise_kernel_manual_unrollILi128ELi4EZNS0_22gpu_kernel_impl_nocastIZZZNS0_12_GLOBAL__N_121bessel_j1_kernel_cudaERNS_18TensorIteratorBaseEENKUlvE_clEvENKUlvE_clEvEUldE_EEvS5_RKT_EUlibE_EEviT1_,comdat
	.globl	_ZN2at6native32elementwise_kernel_manual_unrollILi128ELi4EZNS0_22gpu_kernel_impl_nocastIZZZNS0_12_GLOBAL__N_121bessel_j1_kernel_cudaERNS_18TensorIteratorBaseEENKUlvE_clEvENKUlvE_clEvEUldE_EEvS5_RKT_EUlibE_EEviT1_ ; -- Begin function _ZN2at6native32elementwise_kernel_manual_unrollILi128ELi4EZNS0_22gpu_kernel_impl_nocastIZZZNS0_12_GLOBAL__N_121bessel_j1_kernel_cudaERNS_18TensorIteratorBaseEENKUlvE_clEvENKUlvE_clEvEUldE_EEvS5_RKT_EUlibE_EEviT1_
	.p2align	8
	.type	_ZN2at6native32elementwise_kernel_manual_unrollILi128ELi4EZNS0_22gpu_kernel_impl_nocastIZZZNS0_12_GLOBAL__N_121bessel_j1_kernel_cudaERNS_18TensorIteratorBaseEENKUlvE_clEvENKUlvE_clEvEUldE_EEvS5_RKT_EUlibE_EEviT1_,@function
_ZN2at6native32elementwise_kernel_manual_unrollILi128ELi4EZNS0_22gpu_kernel_impl_nocastIZZZNS0_12_GLOBAL__N_121bessel_j1_kernel_cudaERNS_18TensorIteratorBaseEENKUlvE_clEvENKUlvE_clEvEUldE_EEvS5_RKT_EUlibE_EEviT1_: ; @_ZN2at6native32elementwise_kernel_manual_unrollILi128ELi4EZNS0_22gpu_kernel_impl_nocastIZZZNS0_12_GLOBAL__N_121bessel_j1_kernel_cudaERNS_18TensorIteratorBaseEENKUlvE_clEvENKUlvE_clEvEUldE_EEvS5_RKT_EUlibE_EEviT1_
; %bb.0:
	s_load_dword s66, s[4:5], 0x0
	s_load_dword s64, s[4:5], 0x8
	s_add_u32 flat_scratch_lo, s6, s9
	s_addc_u32 flat_scratch_hi, s7, 0
	s_add_u32 s0, s0, s9
	s_mov_b64 s[36:37], s[4:5]
	s_addc_u32 s1, s1, 0
	s_or_b32 s36, s36, 8
	v_lshl_or_b32 v41, s8, 9, v0
	s_waitcnt lgkmcnt(0)
	s_add_i32 s65, s64, -1
	v_or_b32_e32 v2, 0x180, v41
	s_cmp_gt_u32 s65, 1
	v_cmp_le_i32_e32 vcc, s66, v2
	s_cselect_b64 s[38:39], -1, 0
	s_mov_b32 s32, 0
	s_and_saveexec_b64 s[4:5], vcc
	s_xor_b64 s[52:53], exec, s[4:5]
	s_cbranch_execz .LBB6_8
; %bb.1:
	s_load_dwordx4 s[48:51], s[36:37], 0x4
	s_load_dwordx2 s[54:55], s[36:37], 0x14
	s_load_dwordx4 s[44:47], s[36:37], 0xc4
	s_load_dwordx4 s[40:43], s[36:37], 0x148
	s_cmp_lg_u32 s64, 0
	s_cselect_b64 s[60:61], -1, 0
	s_add_u32 s58, s36, 0xc4
	s_addc_u32 s59, s37, 0
	s_min_u32 s67, s65, 15
	s_cmp_gt_u32 s64, 1
	s_cselect_b64 s[56:57], -1, 0
	v_cmp_gt_i32_e32 vcc, s66, v41
	s_and_saveexec_b64 s[62:63], vcc
	s_cbranch_execz .LBB6_16
; %bb.2:
	s_andn2_b64 vcc, exec, s[38:39]
	s_cbranch_vccnz .LBB6_24
; %bb.3:
	s_mov_b32 s24, 0
	s_andn2_b64 vcc, exec, s[60:61]
	v_mov_b32_e32 v0, 0
	v_mov_b32_e32 v42, 0
	s_cbranch_vccnz .LBB6_80
; %bb.4:
	s_add_i32 s30, s67, 1
	s_cmp_eq_u32 s65, 2
	s_cbranch_scc1 .LBB6_75
; %bb.5:
	s_and_b32 s24, s30, 28
	s_mov_b32 s25, 0
	v_mov_b32_e32 v42, 0
	s_mov_b64 s[26:27], s[36:37]
	s_mov_b64 s[28:29], s[58:59]
	v_mov_b32_e32 v1, v41
	v_mov_b32_e32 v0, 0
.LBB6_6:                                ; =>This Inner Loop Header: Depth=1
	s_load_dwordx8 s[12:19], s[26:27], 0x4
	s_load_dwordx4 s[20:23], s[26:27], 0x24
	s_load_dwordx8 s[4:11], s[28:29], 0x0
	s_add_u32 s26, s26, 48
	s_addc_u32 s27, s27, 0
	s_waitcnt lgkmcnt(0)
	v_mul_hi_u32 v2, s13, v1
	v_add_u32_e32 v2, v1, v2
	v_lshrrev_b32_e32 v2, s14, v2
	v_mul_lo_u32 v3, v2, s12
	v_mul_hi_u32 v4, s16, v2
	v_sub_u32_e32 v1, v1, v3
	v_add_u32_e32 v3, v2, v4
	v_lshrrev_b32_e32 v3, s17, v3
	v_mul_lo_u32 v5, v3, s15
	v_mul_hi_u32 v6, s19, v3
	v_sub_u32_e32 v2, v2, v5
	v_add_u32_e32 v5, v3, v6
	v_mul_lo_u32 v4, v1, s5
	v_mul_lo_u32 v1, v1, s4
	;; [unrolled: 1-line block ×4, first 2 shown]
	v_lshrrev_b32_e32 v5, s20, v5
	v_add3_u32 v2, v1, v42, v2
	v_add3_u32 v0, v4, v0, v6
	v_mul_lo_u32 v1, v5, s18
	v_mul_hi_u32 v4, s22, v5
	v_sub_u32_e32 v1, v3, v1
	v_add_u32_e32 v3, v5, v4
	v_mul_lo_u32 v4, v1, s8
	v_mul_lo_u32 v6, v1, s9
	v_lshrrev_b32_e32 v1, s23, v3
	s_add_i32 s25, s25, 4
	v_mul_lo_u32 v3, v1, s21
	s_add_u32 s28, s28, 32
	v_sub_u32_e32 v3, v5, v3
	s_addc_u32 s29, s29, 0
	v_mul_lo_u32 v5, v3, s10
	v_mul_lo_u32 v3, v3, s11
	s_cmp_lg_u32 s24, s25
	v_add3_u32 v0, v6, v0, v3
	v_add3_u32 v42, v4, v2, v5
	s_cbranch_scc1 .LBB6_6
; %bb.7:
	v_mov_b32_e32 v43, v0
	s_branch .LBB6_76
.LBB6_8:
	s_andn2_saveexec_b64 s[4:5], s[52:53]
	s_cbranch_execz .LBB6_103
.LBB6_9:
	v_cndmask_b32_e64 v0, 0, 1, s[38:39]
	v_cmp_ne_u32_e64 s[4:5], 1, v0
	s_andn2_b64 vcc, exec, s[38:39]
	s_cbranch_vccnz .LBB6_23
; %bb.10:
	s_mov_b32 s6, 0
	s_cmp_lg_u32 s64, 0
	v_mov_b32_e32 v0, 0
	v_mov_b32_e32 v56, 0
	s_cbranch_scc0 .LBB6_15
; %bb.11:
	s_min_u32 s33, s65, 15
	s_add_i32 s33, s33, 1
	s_cmp_eq_u32 s65, 2
	s_cbranch_scc1 .LBB6_26
; %bb.12:
	s_add_u32 s28, s36, 0xc4
	s_addc_u32 s29, s37, 0
	s_and_b32 s6, s33, 28
	s_mov_b32 s7, 0
	v_mov_b32_e32 v56, 0
	s_mov_b64 s[30:31], s[36:37]
	v_mov_b32_e32 v1, v41
	v_mov_b32_e32 v0, 0
.LBB6_13:                               ; =>This Inner Loop Header: Depth=1
	s_load_dwordx8 s[16:23], s[30:31], 0x4
	s_load_dwordx4 s[24:27], s[30:31], 0x24
	s_load_dwordx8 s[8:15], s[28:29], 0x0
	s_add_u32 s30, s30, 48
	s_addc_u32 s31, s31, 0
	s_waitcnt lgkmcnt(0)
	v_mul_hi_u32 v3, s17, v1
	v_add_u32_e32 v3, v1, v3
	v_lshrrev_b32_e32 v3, s18, v3
	v_mul_lo_u32 v4, v3, s16
	v_mul_hi_u32 v5, s20, v3
	v_sub_u32_e32 v1, v1, v4
	v_add_u32_e32 v4, v3, v5
	v_lshrrev_b32_e32 v4, s21, v4
	v_mul_lo_u32 v6, v4, s19
	v_mul_hi_u32 v7, s23, v4
	v_sub_u32_e32 v3, v3, v6
	v_add_u32_e32 v6, v4, v7
	v_mul_lo_u32 v5, v1, s9
	v_mul_lo_u32 v1, v1, s8
	v_mul_lo_u32 v7, v3, s11
	v_mul_lo_u32 v3, v3, s10
	v_lshrrev_b32_e32 v6, s24, v6
	v_add3_u32 v3, v1, v56, v3
	v_add3_u32 v0, v5, v0, v7
	v_mul_lo_u32 v1, v6, s22
	v_mul_hi_u32 v5, s26, v6
	v_sub_u32_e32 v1, v4, v1
	v_add_u32_e32 v4, v6, v5
	v_mul_lo_u32 v5, v1, s12
	v_mul_lo_u32 v7, v1, s13
	v_lshrrev_b32_e32 v1, s27, v4
	s_add_i32 s7, s7, 4
	v_mul_lo_u32 v4, v1, s25
	s_add_u32 s28, s28, 32
	v_sub_u32_e32 v4, v6, v4
	s_addc_u32 s29, s29, 0
	v_mul_lo_u32 v6, v4, s14
	v_mul_lo_u32 v4, v4, s15
	s_cmp_lg_u32 s6, s7
	v_add3_u32 v0, v7, v0, v4
	v_add3_u32 v56, v5, v3, v6
	s_cbranch_scc1 .LBB6_13
; %bb.14:
	v_mov_b32_e32 v57, v0
	s_and_b32 s10, s33, 3
	s_cmp_eq_u32 s10, 0
	s_cbranch_scc0 .LBB6_27
.LBB6_15:
	s_cbranch_execz .LBB6_30
	s_branch .LBB6_32
.LBB6_16:
	s_or_b64 exec, exec, s[62:63]
	v_cmp_gt_i32_e32 vcc, s66, v41
	s_and_saveexec_b64 s[62:63], vcc
	s_cbranch_execz .LBB6_84
.LBB6_17:
	s_andn2_b64 vcc, exec, s[38:39]
	s_cbranch_vccnz .LBB6_25
; %bb.18:
	s_mov_b32 s24, 0
	s_andn2_b64 vcc, exec, s[60:61]
	v_mov_b32_e32 v0, 0
	v_mov_b32_e32 v42, 0
	s_cbranch_vccnz .LBB6_97
; %bb.19:
	s_add_i32 s30, s67, 1
	s_cmp_eq_u32 s65, 2
	s_cbranch_scc1 .LBB6_92
; %bb.20:
	s_and_b32 s24, s30, 28
	s_mov_b32 s25, 0
	v_mov_b32_e32 v42, 0
	s_mov_b64 s[26:27], s[36:37]
	s_mov_b64 s[28:29], s[58:59]
	v_mov_b32_e32 v1, v41
	v_mov_b32_e32 v0, 0
.LBB6_21:                               ; =>This Inner Loop Header: Depth=1
	s_load_dwordx8 s[12:19], s[26:27], 0x4
	s_load_dwordx4 s[20:23], s[26:27], 0x24
	s_load_dwordx8 s[4:11], s[28:29], 0x0
	s_add_u32 s26, s26, 48
	s_addc_u32 s27, s27, 0
	s_waitcnt lgkmcnt(0)
	v_mul_hi_u32 v2, s13, v1
	v_add_u32_e32 v2, v1, v2
	v_lshrrev_b32_e32 v2, s14, v2
	v_mul_lo_u32 v3, v2, s12
	v_mul_hi_u32 v4, s16, v2
	v_sub_u32_e32 v1, v1, v3
	v_add_u32_e32 v3, v2, v4
	v_lshrrev_b32_e32 v3, s17, v3
	v_mul_lo_u32 v5, v3, s15
	v_mul_hi_u32 v6, s19, v3
	v_sub_u32_e32 v2, v2, v5
	v_add_u32_e32 v5, v3, v6
	v_mul_lo_u32 v4, v1, s5
	v_mul_lo_u32 v1, v1, s4
	;; [unrolled: 1-line block ×4, first 2 shown]
	v_lshrrev_b32_e32 v5, s20, v5
	v_add3_u32 v2, v1, v42, v2
	v_add3_u32 v0, v4, v0, v6
	v_mul_lo_u32 v1, v5, s18
	v_mul_hi_u32 v4, s22, v5
	v_sub_u32_e32 v1, v3, v1
	v_add_u32_e32 v3, v5, v4
	v_mul_lo_u32 v4, v1, s8
	v_mul_lo_u32 v6, v1, s9
	v_lshrrev_b32_e32 v1, s23, v3
	s_add_i32 s25, s25, 4
	v_mul_lo_u32 v3, v1, s21
	s_add_u32 s28, s28, 32
	v_sub_u32_e32 v3, v5, v3
	s_addc_u32 s29, s29, 0
	v_mul_lo_u32 v5, v3, s10
	v_mul_lo_u32 v3, v3, s11
	s_cmp_eq_u32 s24, s25
	v_add3_u32 v0, v6, v0, v3
	v_add3_u32 v42, v4, v2, v5
	s_cbranch_scc0 .LBB6_21
; %bb.22:
	v_mov_b32_e32 v43, v0
	s_branch .LBB6_93
.LBB6_23:
                                        ; implicit-def: $vgpr0
                                        ; implicit-def: $vgpr56
	s_branch .LBB6_30
.LBB6_24:
                                        ; implicit-def: $vgpr0
                                        ; implicit-def: $vgpr42
	s_branch .LBB6_81
.LBB6_25:
                                        ; implicit-def: $vgpr0
                                        ; implicit-def: $vgpr42
	s_branch .LBB6_98
.LBB6_26:
	s_mov_b32 s7, s6
	v_pk_mov_b32 v[56:57], s[6:7], s[6:7] op_sel:[0,1]
                                        ; implicit-def: $vgpr0
	v_mov_b32_e32 v1, v41
	s_and_b32 s10, s33, 3
	s_cmp_eq_u32 s10, 0
	s_cbranch_scc1 .LBB6_15
.LBB6_27:
	s_lshl_b32 s7, s6, 3
	s_add_u32 s7, s7, s36
	s_addc_u32 s9, 0, s37
	s_add_u32 s8, s7, 0xc4
	s_addc_u32 s9, s9, 0
	s_mul_i32 s6, s6, 12
	s_add_u32 s6, s36, s6
	s_addc_u32 s7, 0, s37
.LBB6_28:                               ; =>This Inner Loop Header: Depth=1
	s_load_dwordx2 s[12:13], s[6:7], 0x4
	s_load_dword s11, s[6:7], 0xc
	s_load_dwordx2 s[14:15], s[8:9], 0x0
	s_add_u32 s6, s6, 12
	s_addc_u32 s7, s7, 0
	s_waitcnt lgkmcnt(0)
	v_mul_hi_u32 v3, s13, v1
	v_add_u32_e32 v3, v1, v3
	v_lshrrev_b32_e32 v3, s11, v3
	v_mul_lo_u32 v4, v3, s12
	v_mov_b32_e32 v0, v57
	s_add_u32 s8, s8, 8
	v_sub_u32_e32 v6, v1, v4
	v_mov_b32_e32 v1, v3
	s_addc_u32 s9, s9, 0
	s_add_i32 s10, s10, -1
	v_mad_u64_u32 v[4:5], s[12:13], v6, s15, v[0:1]
	v_mad_u64_u32 v[56:57], s[12:13], v6, s14, v[56:57]
	s_cmp_lg_u32 s10, 0
	v_mov_b32_e32 v57, v4
	s_cbranch_scc1 .LBB6_28
; %bb.29:
	v_mov_b32_e32 v0, v57
	s_cbranch_execnz .LBB6_32
.LBB6_30:
	s_load_dwordx4 s[8:11], s[36:37], 0x4
	s_load_dwordx2 s[6:7], s[36:37], 0xc4
	s_cmp_lt_u32 s64, 2
	s_waitcnt lgkmcnt(0)
	v_mul_hi_u32 v0, s9, v41
	v_add_u32_e32 v0, v41, v0
	v_lshrrev_b32_e32 v1, s10, v0
	v_mul_lo_u32 v0, v1, s8
	v_sub_u32_e32 v3, v41, v0
	v_mul_lo_u32 v0, v3, s7
	v_mul_lo_u32 v56, v3, s6
	s_cbranch_scc1 .LBB6_32
; %bb.31:
	s_load_dwordx4 s[8:11], s[36:37], 0x10
	s_load_dwordx2 s[6:7], s[36:37], 0xcc
	s_waitcnt lgkmcnt(0)
	v_mul_hi_u32 v3, s9, v1
	v_add_u32_e32 v3, v1, v3
	v_lshrrev_b32_e32 v3, s10, v3
	v_mul_lo_u32 v3, v3, s8
	v_sub_u32_e32 v1, v1, v3
	v_mad_u64_u32 v[56:57], s[8:9], v1, s6, v[56:57]
	v_mad_u64_u32 v[0:1], s[6:7], v1, s7, v[0:1]
.LBB6_32:
	s_and_b64 vcc, exec, s[4:5]
	v_add_u32_e32 v1, 0x80, v41
	s_cbranch_vccnz .LBB6_39
; %bb.33:
	s_mov_b32 s6, 0
	s_cmp_lg_u32 s64, 0
	v_mov_b32_e32 v44, 0
	v_mov_b32_e32 v58, 0
	s_cbranch_scc0 .LBB6_38
; %bb.34:
	s_min_u32 s33, s65, 15
	s_add_i32 s33, s33, 1
	s_cmp_eq_u32 s65, 2
	s_cbranch_scc1 .LBB6_40
; %bb.35:
	s_add_u32 s28, s36, 0xc4
	s_addc_u32 s29, s37, 0
	s_and_b32 s6, s33, 28
	s_mov_b32 s7, 0
	v_mov_b32_e32 v58, 0
	s_mov_b64 s[30:31], s[36:37]
	v_mov_b32_e32 v3, v1
	v_mov_b32_e32 v44, 0
.LBB6_36:                               ; =>This Inner Loop Header: Depth=1
	s_load_dwordx8 s[16:23], s[30:31], 0x4
	s_load_dwordx4 s[24:27], s[30:31], 0x24
	s_load_dwordx8 s[8:15], s[28:29], 0x0
	s_add_u32 s30, s30, 48
	s_addc_u32 s31, s31, 0
	s_waitcnt lgkmcnt(0)
	v_mul_hi_u32 v4, s17, v3
	v_add_u32_e32 v4, v3, v4
	v_lshrrev_b32_e32 v4, s18, v4
	v_mul_lo_u32 v5, v4, s16
	v_mul_hi_u32 v6, s20, v4
	v_sub_u32_e32 v3, v3, v5
	v_add_u32_e32 v5, v4, v6
	v_lshrrev_b32_e32 v5, s21, v5
	v_mul_lo_u32 v7, v5, s19
	v_mul_hi_u32 v8, s23, v5
	v_sub_u32_e32 v4, v4, v7
	v_add_u32_e32 v7, v5, v8
	v_mul_lo_u32 v6, v3, s9
	v_mul_lo_u32 v3, v3, s8
	;; [unrolled: 1-line block ×4, first 2 shown]
	v_lshrrev_b32_e32 v7, s24, v7
	v_add3_u32 v4, v3, v58, v4
	v_add3_u32 v6, v6, v44, v8
	v_mul_lo_u32 v3, v7, s22
	v_mul_hi_u32 v8, s26, v7
	v_sub_u32_e32 v3, v5, v3
	v_add_u32_e32 v5, v7, v8
	v_mul_lo_u32 v8, v3, s12
	v_mul_lo_u32 v9, v3, s13
	v_lshrrev_b32_e32 v3, s27, v5
	s_add_i32 s7, s7, 4
	v_mul_lo_u32 v5, v3, s25
	s_add_u32 s28, s28, 32
	v_sub_u32_e32 v5, v7, v5
	s_addc_u32 s29, s29, 0
	v_mul_lo_u32 v7, v5, s14
	v_mul_lo_u32 v5, v5, s15
	s_cmp_lg_u32 s6, s7
	v_add3_u32 v44, v9, v6, v5
	v_add3_u32 v58, v8, v4, v7
	s_cbranch_scc1 .LBB6_36
; %bb.37:
	v_mov_b32_e32 v59, v44
	s_and_b32 s10, s33, 3
	s_cmp_eq_u32 s10, 0
	s_cbranch_scc0 .LBB6_41
.LBB6_38:
	s_cbranch_execz .LBB6_44
	s_branch .LBB6_46
.LBB6_39:
                                        ; implicit-def: $vgpr44
                                        ; implicit-def: $vgpr58
	s_branch .LBB6_44
.LBB6_40:
	s_mov_b32 s7, s6
	v_pk_mov_b32 v[58:59], s[6:7], s[6:7] op_sel:[0,1]
                                        ; implicit-def: $vgpr44
	v_mov_b32_e32 v3, v1
	s_and_b32 s10, s33, 3
	s_cmp_eq_u32 s10, 0
	s_cbranch_scc1 .LBB6_38
.LBB6_41:
	s_lshl_b32 s7, s6, 3
	s_add_u32 s7, s7, s36
	s_addc_u32 s9, 0, s37
	s_add_u32 s8, s7, 0xc4
	s_addc_u32 s9, s9, 0
	s_mul_i32 s6, s6, 12
	s_add_u32 s6, s36, s6
	s_addc_u32 s7, 0, s37
.LBB6_42:                               ; =>This Inner Loop Header: Depth=1
	s_load_dwordx2 s[12:13], s[6:7], 0x4
	s_load_dword s11, s[6:7], 0xc
	s_load_dwordx2 s[14:15], s[8:9], 0x0
	s_add_u32 s6, s6, 12
	s_addc_u32 s7, s7, 0
	s_waitcnt lgkmcnt(0)
	v_mul_hi_u32 v5, s13, v3
	v_add_u32_e32 v5, v3, v5
	v_lshrrev_b32_e32 v5, s11, v5
	v_mul_lo_u32 v6, v5, s12
	v_mov_b32_e32 v4, v59
	s_add_u32 s8, s8, 8
	v_sub_u32_e32 v6, v3, v6
	s_addc_u32 s9, s9, 0
	s_add_i32 s10, s10, -1
	v_mov_b32_e32 v3, v5
	v_mad_u64_u32 v[4:5], s[12:13], v6, s15, v[4:5]
	v_mad_u64_u32 v[58:59], s[12:13], v6, s14, v[58:59]
	s_cmp_lg_u32 s10, 0
	v_mov_b32_e32 v59, v4
	s_cbranch_scc1 .LBB6_42
; %bb.43:
	v_mov_b32_e32 v44, v59
	s_cbranch_execnz .LBB6_46
.LBB6_44:
	s_load_dwordx4 s[8:11], s[36:37], 0x4
	s_load_dwordx2 s[6:7], s[36:37], 0xc4
	s_cmp_lt_u32 s64, 2
	s_waitcnt lgkmcnt(0)
	v_mul_hi_u32 v3, s9, v1
	v_add_u32_e32 v3, v1, v3
	v_lshrrev_b32_e32 v3, s10, v3
	v_mul_lo_u32 v4, v3, s8
	v_sub_u32_e32 v1, v1, v4
	v_mul_lo_u32 v44, v1, s7
	v_mul_lo_u32 v58, v1, s6
	s_cbranch_scc1 .LBB6_46
; %bb.45:
	s_load_dwordx4 s[8:11], s[36:37], 0x10
	s_load_dwordx2 s[6:7], s[36:37], 0xcc
	s_waitcnt lgkmcnt(0)
	v_mul_hi_u32 v1, s9, v3
	v_add_u32_e32 v1, v3, v1
	v_lshrrev_b32_e32 v1, s10, v1
	v_mul_lo_u32 v1, v1, s8
	v_sub_u32_e32 v1, v3, v1
	v_mad_u64_u32 v[58:59], s[8:9], v1, s6, v[58:59]
	v_mad_u64_u32 v[44:45], s[6:7], v1, s7, v[44:45]
.LBB6_46:
	s_and_b64 vcc, exec, s[4:5]
	v_add_u32_e32 v1, 0x100, v41
	s_cbranch_vccnz .LBB6_53
; %bb.47:
	s_mov_b32 s6, 0
	s_cmp_lg_u32 s64, 0
	v_mov_b32_e32 v46, 0
	v_mov_b32_e32 v60, 0
	s_cbranch_scc0 .LBB6_52
; %bb.48:
	s_min_u32 s33, s65, 15
	s_add_i32 s33, s33, 1
	s_cmp_eq_u32 s65, 2
	s_cbranch_scc1 .LBB6_54
; %bb.49:
	s_add_u32 s28, s36, 0xc4
	s_addc_u32 s29, s37, 0
	s_and_b32 s6, s33, 28
	s_mov_b32 s7, 0
	v_mov_b32_e32 v60, 0
	s_mov_b64 s[30:31], s[36:37]
	v_mov_b32_e32 v3, v1
	v_mov_b32_e32 v46, 0
.LBB6_50:                               ; =>This Inner Loop Header: Depth=1
	s_load_dwordx8 s[16:23], s[30:31], 0x4
	s_load_dwordx4 s[24:27], s[30:31], 0x24
	s_load_dwordx8 s[8:15], s[28:29], 0x0
	s_add_u32 s30, s30, 48
	s_addc_u32 s31, s31, 0
	s_waitcnt lgkmcnt(0)
	v_mul_hi_u32 v4, s17, v3
	v_add_u32_e32 v4, v3, v4
	v_lshrrev_b32_e32 v4, s18, v4
	v_mul_lo_u32 v5, v4, s16
	v_mul_hi_u32 v6, s20, v4
	v_sub_u32_e32 v3, v3, v5
	v_add_u32_e32 v5, v4, v6
	v_lshrrev_b32_e32 v5, s21, v5
	v_mul_lo_u32 v7, v5, s19
	v_mul_hi_u32 v8, s23, v5
	v_sub_u32_e32 v4, v4, v7
	v_add_u32_e32 v7, v5, v8
	v_mul_lo_u32 v6, v3, s9
	v_mul_lo_u32 v3, v3, s8
	;; [unrolled: 1-line block ×4, first 2 shown]
	v_lshrrev_b32_e32 v7, s24, v7
	v_add3_u32 v4, v3, v60, v4
	v_add3_u32 v6, v6, v46, v8
	v_mul_lo_u32 v3, v7, s22
	v_mul_hi_u32 v8, s26, v7
	v_sub_u32_e32 v3, v5, v3
	v_add_u32_e32 v5, v7, v8
	v_mul_lo_u32 v8, v3, s12
	v_mul_lo_u32 v9, v3, s13
	v_lshrrev_b32_e32 v3, s27, v5
	s_add_i32 s7, s7, 4
	v_mul_lo_u32 v5, v3, s25
	s_add_u32 s28, s28, 32
	v_sub_u32_e32 v5, v7, v5
	s_addc_u32 s29, s29, 0
	v_mul_lo_u32 v7, v5, s14
	v_mul_lo_u32 v5, v5, s15
	s_cmp_lg_u32 s6, s7
	v_add3_u32 v46, v9, v6, v5
	v_add3_u32 v60, v8, v4, v7
	s_cbranch_scc1 .LBB6_50
; %bb.51:
	v_mov_b32_e32 v61, v46
	s_and_b32 s10, s33, 3
	s_cmp_eq_u32 s10, 0
	s_cbranch_scc0 .LBB6_55
.LBB6_52:
	s_cbranch_execz .LBB6_58
	s_branch .LBB6_60
.LBB6_53:
                                        ; implicit-def: $vgpr46
                                        ; implicit-def: $vgpr60
	s_branch .LBB6_58
.LBB6_54:
	s_mov_b32 s7, s6
	v_pk_mov_b32 v[60:61], s[6:7], s[6:7] op_sel:[0,1]
                                        ; implicit-def: $vgpr46
	v_mov_b32_e32 v3, v1
	s_and_b32 s10, s33, 3
	s_cmp_eq_u32 s10, 0
	s_cbranch_scc1 .LBB6_52
.LBB6_55:
	s_lshl_b32 s7, s6, 3
	s_add_u32 s7, s7, s36
	s_addc_u32 s9, 0, s37
	s_add_u32 s8, s7, 0xc4
	s_addc_u32 s9, s9, 0
	s_mul_i32 s6, s6, 12
	s_add_u32 s6, s36, s6
	s_addc_u32 s7, 0, s37
.LBB6_56:                               ; =>This Inner Loop Header: Depth=1
	s_load_dwordx2 s[12:13], s[6:7], 0x4
	s_load_dword s11, s[6:7], 0xc
	s_load_dwordx2 s[14:15], s[8:9], 0x0
	s_add_u32 s6, s6, 12
	s_addc_u32 s7, s7, 0
	s_waitcnt lgkmcnt(0)
	v_mul_hi_u32 v5, s13, v3
	v_add_u32_e32 v5, v3, v5
	v_lshrrev_b32_e32 v5, s11, v5
	v_mul_lo_u32 v6, v5, s12
	v_mov_b32_e32 v4, v61
	s_add_u32 s8, s8, 8
	v_sub_u32_e32 v6, v3, v6
	s_addc_u32 s9, s9, 0
	s_add_i32 s10, s10, -1
	v_mov_b32_e32 v3, v5
	v_mad_u64_u32 v[4:5], s[12:13], v6, s15, v[4:5]
	v_mad_u64_u32 v[60:61], s[12:13], v6, s14, v[60:61]
	s_cmp_lg_u32 s10, 0
	v_mov_b32_e32 v61, v4
	s_cbranch_scc1 .LBB6_56
; %bb.57:
	v_mov_b32_e32 v46, v61
	s_cbranch_execnz .LBB6_60
.LBB6_58:
	s_load_dwordx4 s[8:11], s[36:37], 0x4
	s_load_dwordx2 s[6:7], s[36:37], 0xc4
	s_cmp_lt_u32 s64, 2
	s_waitcnt lgkmcnt(0)
	v_mul_hi_u32 v3, s9, v1
	v_add_u32_e32 v3, v1, v3
	v_lshrrev_b32_e32 v3, s10, v3
	v_mul_lo_u32 v4, v3, s8
	v_sub_u32_e32 v1, v1, v4
	v_mul_lo_u32 v46, v1, s7
	v_mul_lo_u32 v60, v1, s6
	s_cbranch_scc1 .LBB6_60
; %bb.59:
	s_load_dwordx4 s[8:11], s[36:37], 0x10
	s_load_dwordx2 s[6:7], s[36:37], 0xcc
	s_waitcnt lgkmcnt(0)
	v_mul_hi_u32 v1, s9, v3
	v_add_u32_e32 v1, v3, v1
	v_lshrrev_b32_e32 v1, s10, v1
	v_mul_lo_u32 v1, v1, s8
	v_sub_u32_e32 v1, v3, v1
	v_mad_u64_u32 v[60:61], s[8:9], v1, s6, v[60:61]
	v_mad_u64_u32 v[46:47], s[6:7], v1, s7, v[46:47]
.LBB6_60:
	s_and_b64 vcc, exec, s[4:5]
	s_cbranch_vccnz .LBB6_67
; %bb.61:
	s_mov_b32 s24, 0
	s_cmp_lg_u32 s64, 0
	v_mov_b32_e32 v72, 0
	v_mov_b32_e32 v62, 0
	s_cbranch_scc0 .LBB6_66
; %bb.62:
	s_min_u32 s30, s65, 15
	s_add_i32 s30, s30, 1
	s_cmp_eq_u32 s65, 2
	s_cbranch_scc1 .LBB6_68
; %bb.63:
	s_add_u32 s26, s36, 0xc4
	s_addc_u32 s27, s37, 0
	s_and_b32 s24, s30, 28
	s_mov_b32 s25, 0
	v_mov_b32_e32 v62, 0
	s_mov_b64 s[28:29], s[36:37]
	v_mov_b32_e32 v1, v2
	v_mov_b32_e32 v72, 0
.LBB6_64:                               ; =>This Inner Loop Header: Depth=1
	s_load_dwordx8 s[12:19], s[28:29], 0x4
	s_load_dwordx4 s[20:23], s[28:29], 0x24
	s_load_dwordx8 s[4:11], s[26:27], 0x0
	s_add_u32 s28, s28, 48
	s_addc_u32 s29, s29, 0
	s_waitcnt lgkmcnt(0)
	v_mul_hi_u32 v3, s13, v1
	v_add_u32_e32 v3, v1, v3
	v_lshrrev_b32_e32 v3, s14, v3
	v_mul_lo_u32 v4, v3, s12
	v_mul_hi_u32 v5, s16, v3
	v_sub_u32_e32 v1, v1, v4
	v_add_u32_e32 v4, v3, v5
	v_lshrrev_b32_e32 v4, s17, v4
	v_mul_lo_u32 v6, v4, s15
	v_mul_hi_u32 v7, s19, v4
	v_sub_u32_e32 v3, v3, v6
	v_add_u32_e32 v6, v4, v7
	v_mul_lo_u32 v5, v1, s5
	v_mul_lo_u32 v1, v1, s4
	;; [unrolled: 1-line block ×4, first 2 shown]
	v_lshrrev_b32_e32 v6, s20, v6
	v_add3_u32 v3, v1, v62, v3
	v_add3_u32 v5, v5, v72, v7
	v_mul_lo_u32 v1, v6, s18
	v_mul_hi_u32 v7, s22, v6
	v_sub_u32_e32 v1, v4, v1
	v_add_u32_e32 v4, v6, v7
	v_mul_lo_u32 v7, v1, s8
	v_mul_lo_u32 v8, v1, s9
	v_lshrrev_b32_e32 v1, s23, v4
	s_add_i32 s25, s25, 4
	v_mul_lo_u32 v4, v1, s21
	s_add_u32 s26, s26, 32
	v_sub_u32_e32 v4, v6, v4
	s_addc_u32 s27, s27, 0
	v_mul_lo_u32 v6, v4, s10
	v_mul_lo_u32 v4, v4, s11
	s_cmp_lg_u32 s24, s25
	v_add3_u32 v72, v8, v5, v4
	v_add3_u32 v62, v7, v3, v6
	s_cbranch_scc1 .LBB6_64
; %bb.65:
	v_mov_b32_e32 v63, v72
	s_and_b32 s8, s30, 3
	s_cmp_eq_u32 s8, 0
	s_cbranch_scc0 .LBB6_69
.LBB6_66:
	s_cbranch_execz .LBB6_72
	s_branch .LBB6_74
.LBB6_67:
                                        ; implicit-def: $vgpr72
                                        ; implicit-def: $vgpr62
	s_branch .LBB6_72
.LBB6_68:
	s_mov_b32 s25, s24
	v_pk_mov_b32 v[62:63], s[24:25], s[24:25] op_sel:[0,1]
                                        ; implicit-def: $vgpr72
	v_mov_b32_e32 v1, v2
	s_and_b32 s8, s30, 3
	s_cmp_eq_u32 s8, 0
	s_cbranch_scc1 .LBB6_66
.LBB6_69:
	s_lshl_b32 s4, s24, 3
	s_add_u32 s4, s4, s36
	s_addc_u32 s5, 0, s37
	s_add_u32 s4, s4, 0xc4
	s_addc_u32 s5, s5, 0
	s_mul_i32 s6, s24, 12
	s_add_u32 s6, s36, s6
	s_addc_u32 s7, 0, s37
.LBB6_70:                               ; =>This Inner Loop Header: Depth=1
	s_load_dwordx2 s[10:11], s[6:7], 0x4
	s_load_dword s9, s[6:7], 0xc
	s_load_dwordx2 s[12:13], s[4:5], 0x0
	s_add_u32 s6, s6, 12
	s_addc_u32 s7, s7, 0
	s_waitcnt lgkmcnt(0)
	v_mul_hi_u32 v3, s11, v1
	v_add_u32_e32 v3, v1, v3
	v_lshrrev_b32_e32 v3, s9, v3
	v_mul_lo_u32 v5, v3, s10
	v_mov_b32_e32 v4, v63
	s_add_u32 s4, s4, 8
	v_sub_u32_e32 v6, v1, v5
	s_addc_u32 s5, s5, 0
	s_add_i32 s8, s8, -1
	v_mad_u64_u32 v[4:5], s[10:11], v6, s13, v[4:5]
	v_mad_u64_u32 v[62:63], s[10:11], v6, s12, v[62:63]
	s_cmp_lg_u32 s8, 0
	v_mov_b32_e32 v1, v3
	v_mov_b32_e32 v63, v4
	s_cbranch_scc1 .LBB6_70
; %bb.71:
	v_mov_b32_e32 v72, v63
	s_cbranch_execnz .LBB6_74
.LBB6_72:
	s_load_dwordx4 s[4:7], s[36:37], 0x4
	s_load_dwordx2 s[8:9], s[36:37], 0xc4
	s_cmp_lt_u32 s64, 2
	s_waitcnt lgkmcnt(0)
	v_mul_hi_u32 v1, s5, v2
	v_add_u32_e32 v1, v2, v1
	v_lshrrev_b32_e32 v1, s6, v1
	v_mul_lo_u32 v3, v1, s4
	v_sub_u32_e32 v2, v2, v3
	v_mul_lo_u32 v72, v2, s9
	v_mul_lo_u32 v62, v2, s8
	s_cbranch_scc1 .LBB6_74
; %bb.73:
	s_load_dwordx4 s[4:7], s[36:37], 0x10
	s_load_dwordx2 s[8:9], s[36:37], 0xcc
	s_waitcnt lgkmcnt(0)
	v_mul_hi_u32 v2, s5, v1
	v_add_u32_e32 v2, v1, v2
	v_lshrrev_b32_e32 v2, s6, v2
	v_mul_lo_u32 v2, v2, s4
	v_sub_u32_e32 v1, v1, v2
	v_mad_u64_u32 v[62:63], s[4:5], v1, s8, v[62:63]
	v_mad_u64_u32 v[72:73], s[4:5], v1, s9, v[72:73]
.LBB6_74:
	s_load_dwordx4 s[36:39], s[36:37], 0x148
	s_waitcnt lgkmcnt(0)
	s_getpc_b64 s[40:41]
	s_add_u32 s40, s40, _Z17bessel_j1_forwardIdET_S0_@rel32@lo+4
	s_addc_u32 s41, s41, _Z17bessel_j1_forwardIdET_S0_@rel32@hi+12
	global_load_dwordx2 v[0:1], v0, s[38:39]
	s_swappc_b64 s[30:31], s[40:41]
	v_mov_b32_e32 v42, v0
	v_mov_b32_e32 v43, v1
	global_load_dwordx2 v[0:1], v44, s[38:39]
	s_swappc_b64 s[30:31], s[40:41]
	v_mov_b32_e32 v44, v0
	v_mov_b32_e32 v45, v1
	global_load_dwordx2 v[0:1], v46, s[38:39]
	s_swappc_b64 s[30:31], s[40:41]
	v_mov_b32_e32 v46, v0
	v_mov_b32_e32 v47, v1
	global_load_dwordx2 v[0:1], v72, s[38:39]
	s_swappc_b64 s[30:31], s[40:41]
	global_store_dwordx2 v56, v[42:43], s[36:37]
	global_store_dwordx2 v58, v[44:45], s[36:37]
	;; [unrolled: 1-line block ×4, first 2 shown]
	s_endpgm
.LBB6_75:
	s_mov_b32 s25, s24
	v_pk_mov_b32 v[42:43], s[24:25], s[24:25] op_sel:[0,1]
                                        ; implicit-def: $vgpr0
	v_mov_b32_e32 v1, v41
.LBB6_76:
	s_and_b32 s8, s30, 3
	s_cmp_eq_u32 s8, 0
	s_cbranch_scc1 .LBB6_80
; %bb.77:
	s_lshl_b32 s4, s24, 3
	s_add_u32 s4, s4, s36
	s_addc_u32 s5, s37, 0
	s_add_u32 s4, s4, 0xc4
	s_addc_u32 s5, s5, 0
	s_mul_i32 s6, s24, 12
	s_add_u32 s6, s36, s6
	s_addc_u32 s7, s37, 0
.LBB6_78:                               ; =>This Inner Loop Header: Depth=1
	s_load_dwordx2 s[10:11], s[6:7], 0x4
	s_load_dword s9, s[6:7], 0xc
	s_load_dwordx2 s[12:13], s[4:5], 0x0
	s_add_u32 s6, s6, 12
	s_addc_u32 s7, s7, 0
	s_waitcnt lgkmcnt(0)
	v_mul_hi_u32 v2, s11, v1
	v_add_u32_e32 v2, v1, v2
	v_lshrrev_b32_e32 v2, s9, v2
	v_mul_lo_u32 v3, v2, s10
	v_mov_b32_e32 v0, v43
	s_add_u32 s4, s4, 8
	v_sub_u32_e32 v4, v1, v3
	v_mov_b32_e32 v1, v2
	s_addc_u32 s5, s5, 0
	s_add_i32 s8, s8, -1
	v_mad_u64_u32 v[2:3], s[10:11], v4, s13, v[0:1]
	v_mad_u64_u32 v[42:43], s[10:11], v4, s12, v[42:43]
	s_cmp_lg_u32 s8, 0
	v_mov_b32_e32 v43, v2
	s_cbranch_scc1 .LBB6_78
; %bb.79:
	v_mov_b32_e32 v0, v43
.LBB6_80:
	s_cbranch_execnz .LBB6_83
.LBB6_81:
	s_waitcnt lgkmcnt(0)
	v_mul_hi_u32 v0, s49, v41
	v_add_u32_e32 v0, v41, v0
	v_lshrrev_b32_e32 v1, s50, v0
	v_mul_lo_u32 v0, v1, s48
	v_sub_u32_e32 v2, v41, v0
	v_mul_lo_u32 v0, v2, s45
	s_andn2_b64 vcc, exec, s[56:57]
	v_mul_lo_u32 v42, v2, s44
	s_cbranch_vccnz .LBB6_83
; %bb.82:
	v_mul_hi_u32 v2, s54, v1
	v_add_u32_e32 v2, v1, v2
	v_lshrrev_b32_e32 v2, s55, v2
	v_mul_lo_u32 v2, v2, s51
	v_sub_u32_e32 v1, v1, v2
	v_mad_u64_u32 v[42:43], s[4:5], v1, s46, v[42:43]
	v_mad_u64_u32 v[0:1], s[4:5], v1, s47, v[0:1]
.LBB6_83:
	s_waitcnt lgkmcnt(0)
	global_load_dwordx2 v[0:1], v0, s[42:43]
	s_getpc_b64 s[4:5]
	s_add_u32 s4, s4, _Z17bessel_j1_forwardIdET_S0_@rel32@lo+4
	s_addc_u32 s5, s5, _Z17bessel_j1_forwardIdET_S0_@rel32@hi+12
	s_swappc_b64 s[30:31], s[4:5]
	v_add_u32_e32 v41, 0x80, v41
	global_store_dwordx2 v42, v[0:1], s[40:41]
	s_or_b64 exec, exec, s[62:63]
	v_cmp_gt_i32_e32 vcc, s66, v41
	s_and_saveexec_b64 s[62:63], vcc
	s_cbranch_execnz .LBB6_17
.LBB6_84:
	s_or_b64 exec, exec, s[62:63]
	v_cmp_gt_i32_e32 vcc, s66, v41
	s_and_saveexec_b64 s[62:63], vcc
	s_cbranch_execz .LBB6_101
.LBB6_85:
	s_andn2_b64 vcc, exec, s[38:39]
	s_cbranch_vccnz .LBB6_91
; %bb.86:
	s_mov_b32 s24, 0
	s_andn2_b64 vcc, exec, s[60:61]
	v_mov_b32_e32 v0, 0
	v_mov_b32_e32 v42, 0
	s_cbranch_vccnz .LBB6_109
; %bb.87:
	s_add_i32 s30, s67, 1
	s_cmp_eq_u32 s65, 2
	s_cbranch_scc1 .LBB6_104
; %bb.88:
	s_and_b32 s24, s30, 28
	s_mov_b32 s25, 0
	v_mov_b32_e32 v42, 0
	s_mov_b64 s[26:27], s[36:37]
	s_mov_b64 s[28:29], s[58:59]
	v_mov_b32_e32 v1, v41
	v_mov_b32_e32 v0, 0
.LBB6_89:                               ; =>This Inner Loop Header: Depth=1
	s_load_dwordx8 s[12:19], s[26:27], 0x4
	s_load_dwordx4 s[20:23], s[26:27], 0x24
	s_load_dwordx8 s[4:11], s[28:29], 0x0
	s_add_u32 s26, s26, 48
	s_addc_u32 s27, s27, 0
	s_waitcnt lgkmcnt(0)
	v_mul_hi_u32 v2, s13, v1
	v_add_u32_e32 v2, v1, v2
	v_lshrrev_b32_e32 v2, s14, v2
	v_mul_lo_u32 v3, v2, s12
	v_mul_hi_u32 v4, s16, v2
	v_sub_u32_e32 v1, v1, v3
	v_add_u32_e32 v3, v2, v4
	v_lshrrev_b32_e32 v3, s17, v3
	v_mul_lo_u32 v5, v3, s15
	v_mul_hi_u32 v6, s19, v3
	v_sub_u32_e32 v2, v2, v5
	v_add_u32_e32 v5, v3, v6
	v_mul_lo_u32 v4, v1, s5
	v_mul_lo_u32 v1, v1, s4
	;; [unrolled: 1-line block ×4, first 2 shown]
	v_lshrrev_b32_e32 v5, s20, v5
	v_add3_u32 v2, v1, v42, v2
	v_add3_u32 v0, v4, v0, v6
	v_mul_lo_u32 v1, v5, s18
	v_mul_hi_u32 v4, s22, v5
	v_sub_u32_e32 v1, v3, v1
	v_add_u32_e32 v3, v5, v4
	v_mul_lo_u32 v4, v1, s8
	v_mul_lo_u32 v6, v1, s9
	v_lshrrev_b32_e32 v1, s23, v3
	s_add_i32 s25, s25, 4
	v_mul_lo_u32 v3, v1, s21
	s_add_u32 s28, s28, 32
	v_sub_u32_e32 v3, v5, v3
	s_addc_u32 s29, s29, 0
	v_mul_lo_u32 v5, v3, s10
	v_mul_lo_u32 v3, v3, s11
	s_cmp_eq_u32 s24, s25
	v_add3_u32 v0, v6, v0, v3
	v_add3_u32 v42, v4, v2, v5
	s_cbranch_scc0 .LBB6_89
; %bb.90:
	v_mov_b32_e32 v43, v0
	s_branch .LBB6_105
.LBB6_91:
                                        ; implicit-def: $vgpr0
                                        ; implicit-def: $vgpr42
	s_branch .LBB6_110
.LBB6_92:
	s_mov_b32 s25, s24
	v_pk_mov_b32 v[42:43], s[24:25], s[24:25] op_sel:[0,1]
                                        ; implicit-def: $vgpr0
	v_mov_b32_e32 v1, v41
.LBB6_93:
	s_and_b32 s8, s30, 3
	s_cmp_eq_u32 s8, 0
	s_cbranch_scc1 .LBB6_97
; %bb.94:
	s_lshl_b32 s4, s24, 3
	s_add_u32 s4, s4, s36
	s_addc_u32 s5, s37, 0
	s_add_u32 s4, s4, 0xc4
	s_addc_u32 s5, s5, 0
	s_mul_i32 s6, s24, 12
	s_add_u32 s6, s36, s6
	s_addc_u32 s7, s37, 0
.LBB6_95:                               ; =>This Inner Loop Header: Depth=1
	s_load_dwordx2 s[10:11], s[6:7], 0x4
	s_load_dword s9, s[6:7], 0xc
	s_load_dwordx2 s[12:13], s[4:5], 0x0
	s_add_u32 s6, s6, 12
	s_addc_u32 s7, s7, 0
	s_waitcnt lgkmcnt(0)
	v_mul_hi_u32 v2, s11, v1
	v_add_u32_e32 v2, v1, v2
	v_lshrrev_b32_e32 v2, s9, v2
	v_mul_lo_u32 v3, v2, s10
	v_mov_b32_e32 v0, v43
	s_add_u32 s4, s4, 8
	v_sub_u32_e32 v4, v1, v3
	v_mov_b32_e32 v1, v2
	s_addc_u32 s5, s5, 0
	s_add_i32 s8, s8, -1
	v_mad_u64_u32 v[2:3], s[10:11], v4, s13, v[0:1]
	v_mad_u64_u32 v[42:43], s[10:11], v4, s12, v[42:43]
	s_cmp_lg_u32 s8, 0
	v_mov_b32_e32 v43, v2
	s_cbranch_scc1 .LBB6_95
; %bb.96:
	v_mov_b32_e32 v0, v43
.LBB6_97:
	s_cbranch_execnz .LBB6_100
.LBB6_98:
	s_waitcnt lgkmcnt(0)
	v_mul_hi_u32 v0, s49, v41
	v_add_u32_e32 v0, v41, v0
	v_lshrrev_b32_e32 v1, s50, v0
	v_mul_lo_u32 v0, v1, s48
	v_sub_u32_e32 v2, v41, v0
	v_mul_lo_u32 v0, v2, s45
	s_andn2_b64 vcc, exec, s[56:57]
	v_mul_lo_u32 v42, v2, s44
	s_cbranch_vccnz .LBB6_100
; %bb.99:
	v_mul_hi_u32 v2, s54, v1
	v_add_u32_e32 v2, v1, v2
	v_lshrrev_b32_e32 v2, s55, v2
	v_mul_lo_u32 v2, v2, s51
	v_sub_u32_e32 v1, v1, v2
	v_mad_u64_u32 v[42:43], s[4:5], v1, s46, v[42:43]
	v_mad_u64_u32 v[0:1], s[4:5], v1, s47, v[0:1]
.LBB6_100:
	s_waitcnt lgkmcnt(0)
	global_load_dwordx2 v[0:1], v0, s[42:43]
	s_getpc_b64 s[4:5]
	s_add_u32 s4, s4, _Z17bessel_j1_forwardIdET_S0_@rel32@lo+4
	s_addc_u32 s5, s5, _Z17bessel_j1_forwardIdET_S0_@rel32@hi+12
	s_swappc_b64 s[30:31], s[4:5]
	v_add_u32_e32 v41, 0x80, v41
	global_store_dwordx2 v42, v[0:1], s[40:41]
	s_or_b64 exec, exec, s[62:63]
	v_cmp_gt_i32_e32 vcc, s66, v41
	s_and_saveexec_b64 s[62:63], vcc
	s_cbranch_execnz .LBB6_85
.LBB6_101:
	s_or_b64 exec, exec, s[62:63]
	v_cmp_gt_i32_e32 vcc, s66, v41
	s_and_saveexec_b64 s[62:63], vcc
	s_cbranch_execnz .LBB6_113
.LBB6_102:
	s_or_b64 exec, exec, s[62:63]
                                        ; implicit-def: $vgpr2
                                        ; implicit-def: $vgpr41
	s_andn2_saveexec_b64 s[4:5], s[52:53]
	s_cbranch_execnz .LBB6_9
.LBB6_103:
	s_endpgm
.LBB6_104:
	s_mov_b32 s25, s24
	v_pk_mov_b32 v[42:43], s[24:25], s[24:25] op_sel:[0,1]
                                        ; implicit-def: $vgpr0
	v_mov_b32_e32 v1, v41
.LBB6_105:
	s_and_b32 s8, s30, 3
	s_cmp_eq_u32 s8, 0
	s_cbranch_scc1 .LBB6_109
; %bb.106:
	s_lshl_b32 s4, s24, 3
	s_add_u32 s4, s4, s36
	s_addc_u32 s5, s37, 0
	s_add_u32 s4, s4, 0xc4
	s_addc_u32 s5, s5, 0
	s_mul_i32 s6, s24, 12
	s_add_u32 s6, s36, s6
	s_addc_u32 s7, s37, 0
.LBB6_107:                              ; =>This Inner Loop Header: Depth=1
	s_load_dwordx2 s[10:11], s[6:7], 0x4
	s_load_dword s9, s[6:7], 0xc
	s_load_dwordx2 s[12:13], s[4:5], 0x0
	s_add_u32 s6, s6, 12
	s_addc_u32 s7, s7, 0
	s_waitcnt lgkmcnt(0)
	v_mul_hi_u32 v2, s11, v1
	v_add_u32_e32 v2, v1, v2
	v_lshrrev_b32_e32 v2, s9, v2
	v_mul_lo_u32 v3, v2, s10
	v_mov_b32_e32 v0, v43
	s_add_u32 s4, s4, 8
	v_sub_u32_e32 v4, v1, v3
	v_mov_b32_e32 v1, v2
	s_addc_u32 s5, s5, 0
	s_add_i32 s8, s8, -1
	v_mad_u64_u32 v[2:3], s[10:11], v4, s13, v[0:1]
	v_mad_u64_u32 v[42:43], s[10:11], v4, s12, v[42:43]
	s_cmp_lg_u32 s8, 0
	v_mov_b32_e32 v43, v2
	s_cbranch_scc1 .LBB6_107
; %bb.108:
	v_mov_b32_e32 v0, v43
.LBB6_109:
	s_cbranch_execnz .LBB6_112
.LBB6_110:
	s_waitcnt lgkmcnt(0)
	v_mul_hi_u32 v0, s49, v41
	v_add_u32_e32 v0, v41, v0
	v_lshrrev_b32_e32 v1, s50, v0
	v_mul_lo_u32 v0, v1, s48
	v_sub_u32_e32 v2, v41, v0
	v_mul_lo_u32 v0, v2, s45
	s_andn2_b64 vcc, exec, s[56:57]
	v_mul_lo_u32 v42, v2, s44
	s_cbranch_vccnz .LBB6_112
; %bb.111:
	v_mul_hi_u32 v2, s54, v1
	v_add_u32_e32 v2, v1, v2
	v_lshrrev_b32_e32 v2, s55, v2
	v_mul_lo_u32 v2, v2, s51
	v_sub_u32_e32 v1, v1, v2
	v_mad_u64_u32 v[42:43], s[4:5], v1, s46, v[42:43]
	v_mad_u64_u32 v[0:1], s[4:5], v1, s47, v[0:1]
.LBB6_112:
	s_waitcnt lgkmcnt(0)
	global_load_dwordx2 v[0:1], v0, s[42:43]
	s_getpc_b64 s[4:5]
	s_add_u32 s4, s4, _Z17bessel_j1_forwardIdET_S0_@rel32@lo+4
	s_addc_u32 s5, s5, _Z17bessel_j1_forwardIdET_S0_@rel32@hi+12
	s_swappc_b64 s[30:31], s[4:5]
	v_add_u32_e32 v41, 0x80, v41
	global_store_dwordx2 v42, v[0:1], s[40:41]
	s_or_b64 exec, exec, s[62:63]
	v_cmp_gt_i32_e32 vcc, s66, v41
	s_and_saveexec_b64 s[62:63], vcc
	s_cbranch_execz .LBB6_102
.LBB6_113:
	s_andn2_b64 vcc, exec, s[38:39]
	s_cbranch_vccnz .LBB6_119
; %bb.114:
	s_mov_b32 s24, 0
	s_andn2_b64 vcc, exec, s[60:61]
	v_mov_b32_e32 v0, 0
	v_mov_b32_e32 v42, 0
	s_cbranch_vccnz .LBB6_125
; %bb.115:
	s_add_i32 s67, s67, 1
	s_cmp_eq_u32 s65, 2
	s_cbranch_scc1 .LBB6_120
; %bb.116:
	s_and_b32 s24, s67, 28
	s_mov_b32 s25, 0
	v_mov_b32_e32 v42, 0
	s_mov_b64 s[26:27], s[36:37]
	v_mov_b32_e32 v1, v41
	v_mov_b32_e32 v0, 0
.LBB6_117:                              ; =>This Inner Loop Header: Depth=1
	s_load_dwordx8 s[12:19], s[26:27], 0x4
	s_load_dwordx4 s[20:23], s[26:27], 0x24
	s_load_dwordx8 s[4:11], s[58:59], 0x0
	s_add_u32 s26, s26, 48
	s_addc_u32 s27, s27, 0
	s_waitcnt lgkmcnt(0)
	v_mul_hi_u32 v2, s13, v1
	v_add_u32_e32 v2, v1, v2
	v_lshrrev_b32_e32 v2, s14, v2
	v_mul_lo_u32 v3, v2, s12
	v_mul_hi_u32 v4, s16, v2
	v_sub_u32_e32 v1, v1, v3
	v_add_u32_e32 v3, v2, v4
	v_lshrrev_b32_e32 v3, s17, v3
	v_mul_lo_u32 v5, v3, s15
	v_mul_hi_u32 v6, s19, v3
	v_sub_u32_e32 v2, v2, v5
	v_add_u32_e32 v5, v3, v6
	v_mul_lo_u32 v4, v1, s5
	v_mul_lo_u32 v1, v1, s4
	v_mul_lo_u32 v6, v2, s7
	v_mul_lo_u32 v2, v2, s6
	v_lshrrev_b32_e32 v5, s20, v5
	v_add3_u32 v2, v1, v42, v2
	v_add3_u32 v0, v4, v0, v6
	v_mul_lo_u32 v1, v5, s18
	v_mul_hi_u32 v4, s22, v5
	v_sub_u32_e32 v1, v3, v1
	v_add_u32_e32 v3, v5, v4
	v_mul_lo_u32 v4, v1, s8
	v_mul_lo_u32 v6, v1, s9
	v_lshrrev_b32_e32 v1, s23, v3
	s_add_i32 s25, s25, 4
	v_mul_lo_u32 v3, v1, s21
	s_add_u32 s58, s58, 32
	v_sub_u32_e32 v3, v5, v3
	s_addc_u32 s59, s59, 0
	v_mul_lo_u32 v5, v3, s10
	v_mul_lo_u32 v3, v3, s11
	s_cmp_eq_u32 s24, s25
	v_add3_u32 v0, v6, v0, v3
	v_add3_u32 v42, v4, v2, v5
	s_cbranch_scc0 .LBB6_117
; %bb.118:
	v_mov_b32_e32 v43, v0
	s_branch .LBB6_121
.LBB6_119:
                                        ; implicit-def: $vgpr0
                                        ; implicit-def: $vgpr42
	s_branch .LBB6_126
.LBB6_120:
	s_mov_b32 s25, s24
	v_pk_mov_b32 v[42:43], s[24:25], s[24:25] op_sel:[0,1]
                                        ; implicit-def: $vgpr0
	v_mov_b32_e32 v1, v41
.LBB6_121:
	s_and_b32 s8, s67, 3
	s_cmp_eq_u32 s8, 0
	s_cbranch_scc1 .LBB6_125
; %bb.122:
	s_lshl_b32 s4, s24, 3
	s_add_u32 s4, s4, s36
	s_addc_u32 s5, s37, 0
	s_add_u32 s4, s4, 0xc4
	s_addc_u32 s5, s5, 0
	s_mul_i32 s6, s24, 12
	s_add_u32 s6, s36, s6
	s_addc_u32 s7, s37, 0
.LBB6_123:                              ; =>This Inner Loop Header: Depth=1
	s_load_dwordx2 s[10:11], s[6:7], 0x4
	s_load_dword s9, s[6:7], 0xc
	s_load_dwordx2 s[12:13], s[4:5], 0x0
	s_add_u32 s6, s6, 12
	s_addc_u32 s7, s7, 0
	s_waitcnt lgkmcnt(0)
	v_mul_hi_u32 v2, s11, v1
	v_add_u32_e32 v2, v1, v2
	v_lshrrev_b32_e32 v2, s9, v2
	v_mul_lo_u32 v3, v2, s10
	v_mov_b32_e32 v0, v43
	s_add_u32 s4, s4, 8
	v_sub_u32_e32 v4, v1, v3
	v_mov_b32_e32 v1, v2
	s_addc_u32 s5, s5, 0
	s_add_i32 s8, s8, -1
	v_mad_u64_u32 v[2:3], s[10:11], v4, s13, v[0:1]
	v_mad_u64_u32 v[42:43], s[10:11], v4, s12, v[42:43]
	s_cmp_lg_u32 s8, 0
	v_mov_b32_e32 v43, v2
	s_cbranch_scc1 .LBB6_123
; %bb.124:
	v_mov_b32_e32 v0, v43
.LBB6_125:
	s_cbranch_execnz .LBB6_128
.LBB6_126:
	s_waitcnt lgkmcnt(0)
	v_mul_hi_u32 v0, s49, v41
	v_add_u32_e32 v0, v41, v0
	v_lshrrev_b32_e32 v1, s50, v0
	v_mul_lo_u32 v0, v1, s48
	v_sub_u32_e32 v2, v41, v0
	v_mul_lo_u32 v0, v2, s45
	s_andn2_b64 vcc, exec, s[56:57]
	v_mul_lo_u32 v42, v2, s44
	s_cbranch_vccnz .LBB6_128
; %bb.127:
	v_mul_hi_u32 v2, s54, v1
	v_add_u32_e32 v2, v1, v2
	v_lshrrev_b32_e32 v2, s55, v2
	v_mul_lo_u32 v2, v2, s51
	v_sub_u32_e32 v1, v1, v2
	v_mad_u64_u32 v[42:43], s[4:5], v1, s46, v[42:43]
	v_mad_u64_u32 v[0:1], s[4:5], v1, s47, v[0:1]
.LBB6_128:
	s_waitcnt lgkmcnt(0)
	global_load_dwordx2 v[0:1], v0, s[42:43]
	s_getpc_b64 s[4:5]
	s_add_u32 s4, s4, _Z17bessel_j1_forwardIdET_S0_@rel32@lo+4
	s_addc_u32 s5, s5, _Z17bessel_j1_forwardIdET_S0_@rel32@hi+12
	s_swappc_b64 s[30:31], s[4:5]
	global_store_dwordx2 v42, v[0:1], s[40:41]
	s_or_b64 exec, exec, s[62:63]
                                        ; implicit-def: $vgpr2
                                        ; implicit-def: $vgpr41
	s_andn2_saveexec_b64 s[4:5], s[52:53]
	s_cbranch_execz .LBB6_103
	s_branch .LBB6_9
	.section	.rodata,"a",@progbits
	.p2align	6, 0x0
	.amdhsa_kernel _ZN2at6native32elementwise_kernel_manual_unrollILi128ELi4EZNS0_22gpu_kernel_impl_nocastIZZZNS0_12_GLOBAL__N_121bessel_j1_kernel_cudaERNS_18TensorIteratorBaseEENKUlvE_clEvENKUlvE_clEvEUldE_EEvS5_RKT_EUlibE_EEviT1_
		.amdhsa_group_segment_fixed_size 0
		.amdhsa_private_segment_fixed_size 16
		.amdhsa_kernarg_size 360
		.amdhsa_user_sgpr_count 8
		.amdhsa_user_sgpr_private_segment_buffer 1
		.amdhsa_user_sgpr_dispatch_ptr 0
		.amdhsa_user_sgpr_queue_ptr 0
		.amdhsa_user_sgpr_kernarg_segment_ptr 1
		.amdhsa_user_sgpr_dispatch_id 0
		.amdhsa_user_sgpr_flat_scratch_init 1
		.amdhsa_user_sgpr_kernarg_preload_length 0
		.amdhsa_user_sgpr_kernarg_preload_offset 0
		.amdhsa_user_sgpr_private_segment_size 0
		.amdhsa_uses_dynamic_stack 1
		.amdhsa_system_sgpr_private_segment_wavefront_offset 1
		.amdhsa_system_sgpr_workgroup_id_x 1
		.amdhsa_system_sgpr_workgroup_id_y 0
		.amdhsa_system_sgpr_workgroup_id_z 0
		.amdhsa_system_sgpr_workgroup_info 0
		.amdhsa_system_vgpr_workitem_id 0
		.amdhsa_next_free_vgpr 74
		.amdhsa_next_free_sgpr 68
		.amdhsa_accum_offset 76
		.amdhsa_reserve_vcc 1
		.amdhsa_reserve_flat_scratch 1
		.amdhsa_float_round_mode_32 0
		.amdhsa_float_round_mode_16_64 0
		.amdhsa_float_denorm_mode_32 3
		.amdhsa_float_denorm_mode_16_64 3
		.amdhsa_dx10_clamp 1
		.amdhsa_ieee_mode 1
		.amdhsa_fp16_overflow 0
		.amdhsa_tg_split 0
		.amdhsa_exception_fp_ieee_invalid_op 0
		.amdhsa_exception_fp_denorm_src 0
		.amdhsa_exception_fp_ieee_div_zero 0
		.amdhsa_exception_fp_ieee_overflow 0
		.amdhsa_exception_fp_ieee_underflow 0
		.amdhsa_exception_fp_ieee_inexact 0
		.amdhsa_exception_int_div_zero 0
	.end_amdhsa_kernel
	.section	.text._ZN2at6native32elementwise_kernel_manual_unrollILi128ELi4EZNS0_22gpu_kernel_impl_nocastIZZZNS0_12_GLOBAL__N_121bessel_j1_kernel_cudaERNS_18TensorIteratorBaseEENKUlvE_clEvENKUlvE_clEvEUldE_EEvS5_RKT_EUlibE_EEviT1_,"axG",@progbits,_ZN2at6native32elementwise_kernel_manual_unrollILi128ELi4EZNS0_22gpu_kernel_impl_nocastIZZZNS0_12_GLOBAL__N_121bessel_j1_kernel_cudaERNS_18TensorIteratorBaseEENKUlvE_clEvENKUlvE_clEvEUldE_EEvS5_RKT_EUlibE_EEviT1_,comdat
.Lfunc_end6:
	.size	_ZN2at6native32elementwise_kernel_manual_unrollILi128ELi4EZNS0_22gpu_kernel_impl_nocastIZZZNS0_12_GLOBAL__N_121bessel_j1_kernel_cudaERNS_18TensorIteratorBaseEENKUlvE_clEvENKUlvE_clEvEUldE_EEvS5_RKT_EUlibE_EEviT1_, .Lfunc_end6-_ZN2at6native32elementwise_kernel_manual_unrollILi128ELi4EZNS0_22gpu_kernel_impl_nocastIZZZNS0_12_GLOBAL__N_121bessel_j1_kernel_cudaERNS_18TensorIteratorBaseEENKUlvE_clEvENKUlvE_clEvEUldE_EEvS5_RKT_EUlibE_EEviT1_
                                        ; -- End function
	.section	.AMDGPU.csdata,"",@progbits
; Kernel info:
; codeLenInByte = 5952
; NumSgprs: 74
; NumVgprs: 74
; NumAgprs: 0
; TotalNumVgprs: 74
; ScratchSize: 16
; MemoryBound: 0
; FloatMode: 240
; IeeeMode: 1
; LDSByteSize: 0 bytes/workgroup (compile time only)
; SGPRBlocks: 9
; VGPRBlocks: 9
; NumSGPRsForWavesPerEU: 74
; NumVGPRsForWavesPerEU: 74
; AccumOffset: 76
; Occupancy: 6
; WaveLimiterHint : 1
; COMPUTE_PGM_RSRC2:SCRATCH_EN: 1
; COMPUTE_PGM_RSRC2:USER_SGPR: 8
; COMPUTE_PGM_RSRC2:TRAP_HANDLER: 0
; COMPUTE_PGM_RSRC2:TGID_X_EN: 1
; COMPUTE_PGM_RSRC2:TGID_Y_EN: 0
; COMPUTE_PGM_RSRC2:TGID_Z_EN: 0
; COMPUTE_PGM_RSRC2:TIDIG_COMP_CNT: 0
; COMPUTE_PGM_RSRC3_GFX90A:ACCUM_OFFSET: 18
; COMPUTE_PGM_RSRC3_GFX90A:TG_SPLIT: 0
	.section	.text._ZN2at6native32elementwise_kernel_manual_unrollILi128ELi4EZNS0_15gpu_kernel_implIZZZNS0_12_GLOBAL__N_121bessel_j1_kernel_cudaERNS_18TensorIteratorBaseEENKUlvE_clEvENKUlvE_clEvEUldE_EEvS5_RKT_EUlibE_EEviT1_,"axG",@progbits,_ZN2at6native32elementwise_kernel_manual_unrollILi128ELi4EZNS0_15gpu_kernel_implIZZZNS0_12_GLOBAL__N_121bessel_j1_kernel_cudaERNS_18TensorIteratorBaseEENKUlvE_clEvENKUlvE_clEvEUldE_EEvS5_RKT_EUlibE_EEviT1_,comdat
	.globl	_ZN2at6native32elementwise_kernel_manual_unrollILi128ELi4EZNS0_15gpu_kernel_implIZZZNS0_12_GLOBAL__N_121bessel_j1_kernel_cudaERNS_18TensorIteratorBaseEENKUlvE_clEvENKUlvE_clEvEUldE_EEvS5_RKT_EUlibE_EEviT1_ ; -- Begin function _ZN2at6native32elementwise_kernel_manual_unrollILi128ELi4EZNS0_15gpu_kernel_implIZZZNS0_12_GLOBAL__N_121bessel_j1_kernel_cudaERNS_18TensorIteratorBaseEENKUlvE_clEvENKUlvE_clEvEUldE_EEvS5_RKT_EUlibE_EEviT1_
	.p2align	8
	.type	_ZN2at6native32elementwise_kernel_manual_unrollILi128ELi4EZNS0_15gpu_kernel_implIZZZNS0_12_GLOBAL__N_121bessel_j1_kernel_cudaERNS_18TensorIteratorBaseEENKUlvE_clEvENKUlvE_clEvEUldE_EEvS5_RKT_EUlibE_EEviT1_,@function
_ZN2at6native32elementwise_kernel_manual_unrollILi128ELi4EZNS0_15gpu_kernel_implIZZZNS0_12_GLOBAL__N_121bessel_j1_kernel_cudaERNS_18TensorIteratorBaseEENKUlvE_clEvENKUlvE_clEvEUldE_EEvS5_RKT_EUlibE_EEviT1_: ; @_ZN2at6native32elementwise_kernel_manual_unrollILi128ELi4EZNS0_15gpu_kernel_implIZZZNS0_12_GLOBAL__N_121bessel_j1_kernel_cudaERNS_18TensorIteratorBaseEENKUlvE_clEvENKUlvE_clEvEUldE_EEvS5_RKT_EUlibE_EEviT1_
; %bb.0:
	v_mov_b32_e32 v1, 0
	global_load_ushort v41, v1, s[4:5] offset:33
	s_load_dwordx4 s[36:39], s[4:5], 0x8
	s_load_dwordx2 s[40:41], s[4:5], 0x18
	s_load_dword s62, s[4:5], 0x0
	s_add_u32 flat_scratch_lo, s6, s9
	s_addc_u32 flat_scratch_hi, s7, 0
	v_lshl_or_b32 v56, s8, 9, v0
	s_add_u32 s0, s0, s9
	v_or_b32_e32 v0, 0x180, v56
	s_addc_u32 s1, s1, 0
	s_mov_b64 s[42:43], 0
	s_waitcnt lgkmcnt(0)
	v_cmp_le_i32_e32 vcc, s62, v0
	s_mov_b64 s[46:47], 0
	s_mov_b32 s32, 0
	s_waitcnt vmcnt(0)
	v_lshrrev_b16_e32 v57, 8, v41
	s_and_saveexec_b64 s[4:5], vcc
	s_xor_b64 s[44:45], exec, s[4:5]
	s_cbranch_execz .LBB7_1026
; %bb.1:
	v_cmp_gt_i32_e32 vcc, s62, v56
	s_mov_b64 s[6:7], -1
	s_mov_b64 s[54:55], 0
	s_mov_b64 s[48:49], 0
	s_and_saveexec_b64 s[50:51], vcc
	s_cbranch_execz .LBB7_251
; %bb.2:
	v_mul_lo_u32 v0, v56, s41
	v_ashrrev_i32_e32 v1, 31, v0
	v_mov_b32_e32 v3, s39
	v_add_co_u32_e32 v2, vcc, s38, v0
	v_addc_co_u32_e32 v3, vcc, v3, v1, vcc
	v_cmp_gt_i16_e32 vcc, 11, v57
	s_cbranch_vccnz .LBB7_9
; %bb.3:
	v_cmp_lt_i16_e32 vcc, 25, v57
	s_cbranch_vccz .LBB7_18
; %bb.4:
	v_cmp_lt_i16_e32 vcc, 28, v57
	s_cbranch_vccz .LBB7_22
	;; [unrolled: 3-line block ×4, first 2 shown]
; %bb.7:
	v_cmp_eq_u16_e32 vcc, 46, v57
	s_mov_b64 s[6:7], 0
	s_cbranch_vccz .LBB7_27
; %bb.8:
	global_load_dword v0, v[2:3], off
	s_mov_b64 s[4:5], -1
	s_waitcnt vmcnt(0)
	v_lshlrev_b32_e32 v0, 16, v0
	v_cvt_f64_f32_e32 v[0:1], v0
	s_branch .LBB7_29
.LBB7_9:
                                        ; implicit-def: $vgpr0_vgpr1
	s_mov_b64 s[4:5], 0
	s_and_b64 vcc, exec, s[6:7]
	s_cbranch_vccnz .LBB7_202
.LBB7_10:
	s_andn2_b64 vcc, exec, s[4:5]
	s_cbranch_vccnz .LBB7_249
.LBB7_11:
	s_getpc_b64 s[4:5]
	s_add_u32 s4, s4, _Z17bessel_j1_forwardIdET_S0_@rel32@lo+4
	s_addc_u32 s5, s5, _Z17bessel_j1_forwardIdET_S0_@rel32@hi+12
	s_swappc_b64 s[30:31], s[4:5]
	v_mul_lo_u32 v2, v56, s40
	v_ashrrev_i32_e32 v3, 31, v2
	v_mov_b32_e32 v5, s37
	v_add_co_u32_e32 v4, vcc, s36, v2
	v_mov_b32_e32 v2, 11
	v_addc_co_u32_e32 v5, vcc, v5, v3, vcc
	v_cmp_lt_i16_sdwa s[4:5], v41, v2 src0_sel:BYTE_0 src1_sel:DWORD
	s_and_b64 vcc, exec, s[4:5]
	s_cbranch_vccnz .LBB7_19
; %bb.12:
	v_mov_b32_e32 v2, 25
	v_cmp_gt_i16_sdwa s[4:5], v41, v2 src0_sel:BYTE_0 src1_sel:DWORD
	s_and_b64 vcc, exec, s[4:5]
	s_cbranch_vccz .LBB7_23
; %bb.13:
	v_mov_b32_e32 v2, 28
	v_cmp_gt_i16_sdwa s[4:5], v41, v2 src0_sel:BYTE_0 src1_sel:DWORD
	s_and_b64 vcc, exec, s[4:5]
	s_cbranch_vccz .LBB7_25
	;; [unrolled: 5-line block ×4, first 2 shown]
; %bb.16:
	v_mov_b32_e32 v2, 46
	v_cmp_eq_u16_sdwa s[6:7], v41, v2 src0_sel:BYTE_0 src1_sel:DWORD
	s_mov_b64 s[8:9], 0
	s_mov_b64 s[4:5], -1
	s_and_b64 vcc, exec, s[6:7]
	s_mov_b64 s[6:7], 0
	s_cbranch_vccz .LBB7_33
; %bb.17:
	v_cvt_f32_f64_e32 v2, v[0:1]
	v_bfe_u32 v3, v2, 16, 1
	s_movk_i32 s4, 0x7fff
	v_add3_u32 v3, v2, v3, s4
	v_lshrrev_b32_e32 v3, 16, v3
	v_mov_b32_e32 v6, 0x7fc0
	v_cmp_o_f32_e32 vcc, v2, v2
	v_cndmask_b32_e32 v2, v6, v3, vcc
	global_store_dword v[4:5], v2, off
	s_mov_b64 s[6:7], -1
	s_mov_b64 s[4:5], 0
	s_branch .LBB7_33
.LBB7_18:
	s_mov_b64 s[4:5], 0
                                        ; implicit-def: $vgpr0_vgpr1
	s_and_b64 vcc, exec, s[6:7]
	s_cbranch_vccnz .LBB7_167
	s_branch .LBB7_201
.LBB7_19:
	s_mov_b64 s[4:5], 0
	s_mov_b64 s[6:7], 0
	s_cbranch_execnz .LBB7_102
.LBB7_20:
	s_andn2_b64 vcc, exec, s[6:7]
	s_cbranch_vccnz .LBB7_140
.LBB7_21:
	v_add_u32_e32 v56, 0x80, v56
	s_mov_b64 s[6:7], -1
	s_branch .LBB7_250
.LBB7_22:
	s_mov_b64 s[4:5], 0
                                        ; implicit-def: $vgpr0_vgpr1
	s_branch .LBB7_148
.LBB7_23:
	s_mov_b64 s[8:9], -1
	s_mov_b64 s[4:5], 0
	s_mov_b64 s[6:7], 0
	s_branch .LBB7_60
.LBB7_24:
	s_mov_b64 s[4:5], 0
                                        ; implicit-def: $vgpr0_vgpr1
	s_branch .LBB7_143
.LBB7_25:
	s_mov_b64 s[8:9], -1
	s_mov_b64 s[4:5], 0
	s_mov_b64 s[6:7], 0
	s_branch .LBB7_43
.LBB7_26:
	s_mov_b64 s[8:9], -1
	s_mov_b64 s[4:5], 0
	s_mov_b64 s[6:7], 0
	s_branch .LBB7_39
.LBB7_27:
	s_mov_b64 s[48:49], -1
.LBB7_28:
	s_mov_b64 s[4:5], 0
                                        ; implicit-def: $vgpr0_vgpr1
.LBB7_29:
	s_and_b64 vcc, exec, s[6:7]
	s_cbranch_vccz .LBB7_142
; %bb.30:
	v_cmp_eq_u16_e32 vcc, 44, v57
	s_cbranch_vccz .LBB7_141
; %bb.31:
	global_load_ubyte v4, v[2:3], off
	s_movk_i32 s6, 0xff
	v_bfrev_b32_e32 v5, 4
	v_mov_b32_e32 v6, 0x7ff80000
	v_bfrev_b32_e32 v7, 28
	s_mov_b64 s[4:5], -1
	s_mov_b64 s[48:49], 0
	s_waitcnt vmcnt(0)
	v_lshlrev_b32_e32 v0, 23, v4
	v_cvt_f64_f32_e32 v[0:1], v0
	v_cmp_ne_u32_e32 vcc, s6, v4
	v_cndmask_b32_e32 v0, v5, v0, vcc
	v_cndmask_b32_e32 v1, v6, v1, vcc
	v_cmp_ne_u32_e32 vcc, 0, v4
	v_cndmask_b32_e32 v1, v7, v1, vcc
	v_cndmask_b32_e32 v0, 0, v0, vcc
	s_branch .LBB7_142
.LBB7_32:
	s_mov_b64 s[8:9], -1
	s_mov_b64 s[4:5], 0
	s_mov_b64 s[6:7], 0
.LBB7_33:
	s_and_b64 vcc, exec, s[8:9]
	s_cbranch_vccz .LBB7_38
; %bb.34:
	v_mov_b32_e32 v2, 44
	v_cmp_eq_u16_sdwa s[8:9], v41, v2 src0_sel:BYTE_0 src1_sel:DWORD
	s_mov_b64 s[4:5], -1
	s_and_b64 vcc, exec, s[8:9]
	s_cbranch_vccz .LBB7_38
; %bb.35:
	v_cvt_f32_f64_e32 v2, v[0:1]
	v_bfe_u32 v3, v2, 23, 8
	s_movk_i32 s4, 0xff
	v_cmp_ne_u32_e32 vcc, s4, v3
	v_mov_b32_e32 v6, 0xff
	s_and_saveexec_b64 s[6:7], vcc
; %bb.36:
	s_mov_b32 s4, 0x3fffff
	v_lshrrev_b32_e32 v6, 23, v2
	v_and_b32_e32 v7, 0x400000, v2
	v_and_or_b32 v2, v2, s4, v3
	v_cmp_ne_u32_e32 vcc, 0, v7
	v_cmp_ne_u32_e64 s[4:5], 0, v2
	s_and_b64 s[4:5], vcc, s[4:5]
	v_cndmask_b32_e64 v2, 0, 1, s[4:5]
	v_add_u32_e32 v6, v6, v2
; %bb.37:
	s_or_b64 exec, exec, s[6:7]
	s_mov_b64 s[6:7], -1
	s_mov_b64 s[4:5], 0
	global_store_byte v[4:5], v6, off
.LBB7_38:
	s_mov_b64 s[8:9], 0
.LBB7_39:
	s_and_b64 vcc, exec, s[8:9]
	s_cbranch_vccz .LBB7_42
; %bb.40:
	v_mov_b32_e32 v2, 29
	v_cmp_eq_u16_sdwa s[8:9], v41, v2 src0_sel:BYTE_0 src1_sel:DWORD
	s_mov_b64 s[4:5], -1
	s_and_b64 vcc, exec, s[8:9]
	s_cbranch_vccz .LBB7_42
; %bb.41:
	v_trunc_f64_e32 v[2:3], v[0:1]
	s_movk_i32 s4, 0xffe0
	v_ldexp_f64 v[6:7], v[2:3], s4
	v_floor_f64_e32 v[6:7], v[6:7]
	v_fmac_f64_e32 v[2:3], 0xc1f00000, v[6:7]
	v_cvt_u32_f64_e32 v9, v[6:7]
	v_cvt_u32_f64_e32 v8, v[2:3]
	global_store_dwordx2 v[4:5], v[8:9], off
	s_mov_b64 s[6:7], -1
	s_mov_b64 s[4:5], 0
.LBB7_42:
	s_mov_b64 s[8:9], 0
.LBB7_43:
	s_and_b64 vcc, exec, s[8:9]
	s_cbranch_vccz .LBB7_59
; %bb.44:
	v_mov_b32_e32 v2, 27
	v_cmp_lt_i16_sdwa s[8:9], v41, v2 src0_sel:BYTE_0 src1_sel:DWORD
	s_mov_b64 s[6:7], -1
	s_and_b64 vcc, exec, s[8:9]
	s_cbranch_vccnz .LBB7_50
; %bb.45:
	v_cmp_gt_i16_sdwa s[8:9], v41, v2 src0_sel:BYTE_0 src1_sel:DWORD
	s_and_b64 vcc, exec, s[8:9]
	v_cvt_u32_f64_e32 v2, v[0:1]
	s_cbranch_vccz .LBB7_47
; %bb.46:
	s_mov_b64 s[6:7], 0
	global_store_dword v[4:5], v2, off
.LBB7_47:
	s_andn2_b64 vcc, exec, s[6:7]
	s_cbranch_vccnz .LBB7_49
; %bb.48:
	global_store_short v[4:5], v2, off
.LBB7_49:
	s_mov_b64 s[6:7], 0
.LBB7_50:
	s_andn2_b64 vcc, exec, s[6:7]
	s_cbranch_vccnz .LBB7_58
; %bb.51:
	v_cvt_f32_f64_e32 v2, v[0:1]
	v_and_b32_e32 v3, 0x7fffffff, v2
	s_mov_b32 s6, 0x43800000
	v_cmp_gt_u32_e32 vcc, s6, v3
	v_mov_b32_e32 v6, 0x80
	s_and_saveexec_b64 s[6:7], vcc
	s_cbranch_execz .LBB7_57
; %bb.52:
	s_mov_b32 s8, 0x3bffffff
	v_cmp_lt_u32_e32 vcc, s8, v3
	s_mov_b64 s[8:9], 0
                                        ; implicit-def: $vgpr3
	s_and_saveexec_b64 s[10:11], vcc
	s_xor_b64 s[10:11], exec, s[10:11]
	s_cbranch_execz .LBB7_278
; %bb.53:
	v_bfe_u32 v3, v2, 20, 1
	s_mov_b32 s12, 0x487ffff
	v_add3_u32 v3, v2, v3, s12
	s_mov_b64 s[8:9], exec
	v_lshrrev_b32_e32 v3, 20, v3
	s_or_saveexec_b64 s[10:11], s[10:11]
                                        ; implicit-def: $sgpr12
	s_xor_b64 exec, exec, s[10:11]
	s_cbranch_execnz .LBB7_279
.LBB7_54:
	s_or_b64 exec, exec, s[10:11]
	v_mov_b32_e32 v6, s12
	s_and_saveexec_b64 s[10:11], s[8:9]
.LBB7_55:
	v_lshrrev_b32_e32 v2, 24, v2
	s_movk_i32 s8, 0x80
	v_and_or_b32 v6, v2, s8, v3
.LBB7_56:
	s_or_b64 exec, exec, s[10:11]
.LBB7_57:
	s_or_b64 exec, exec, s[6:7]
	global_store_byte v[4:5], v6, off
.LBB7_58:
	s_mov_b64 s[6:7], -1
.LBB7_59:
	s_mov_b64 s[8:9], 0
.LBB7_60:
	s_and_b64 vcc, exec, s[8:9]
	s_cbranch_vccz .LBB7_101
; %bb.61:
	v_mov_b32_e32 v2, 22
	v_cmp_gt_i16_sdwa s[10:11], v41, v2 src0_sel:BYTE_0 src1_sel:DWORD
	s_mov_b64 s[8:9], -1
	s_and_b64 vcc, exec, s[10:11]
	s_cbranch_vccz .LBB7_93
; %bb.62:
	v_mov_b32_e32 v2, 24
	v_cmp_lt_i16_sdwa s[8:9], v41, v2 src0_sel:BYTE_0 src1_sel:DWORD
	s_mov_b64 s[6:7], -1
	s_and_b64 vcc, exec, s[8:9]
	s_cbranch_vccnz .LBB7_82
; %bb.63:
	v_cmp_gt_i16_sdwa s[8:9], v41, v2 src0_sel:BYTE_0 src1_sel:DWORD
	s_and_b64 vcc, exec, s[8:9]
	s_cbranch_vccz .LBB7_71
; %bb.64:
	v_cvt_f32_f64_e32 v2, v[0:1]
	v_and_b32_e32 v3, 0x7fffffff, v2
	s_mov_b32 s6, 0x47800000
	v_cmp_gt_u32_e32 vcc, s6, v3
	v_mov_b32_e32 v6, 0x80
	s_and_saveexec_b64 s[6:7], vcc
	s_cbranch_execz .LBB7_70
; %bb.65:
	s_mov_b32 s8, 0x37ffffff
	v_cmp_lt_u32_e32 vcc, s8, v3
	s_mov_b64 s[8:9], 0
                                        ; implicit-def: $vgpr3
	s_and_saveexec_b64 s[10:11], vcc
	s_xor_b64 s[10:11], exec, s[10:11]
	s_cbranch_execz .LBB7_282
; %bb.66:
	v_bfe_u32 v3, v2, 21, 1
	s_mov_b32 s12, 0x88fffff
	v_add3_u32 v3, v2, v3, s12
	s_mov_b64 s[8:9], exec
	v_lshrrev_b32_e32 v3, 21, v3
	s_or_saveexec_b64 s[10:11], s[10:11]
                                        ; implicit-def: $sgpr12
	s_xor_b64 exec, exec, s[10:11]
	s_cbranch_execnz .LBB7_283
.LBB7_67:
	s_or_b64 exec, exec, s[10:11]
	v_mov_b32_e32 v6, s12
	s_and_saveexec_b64 s[10:11], s[8:9]
.LBB7_68:
	v_lshrrev_b32_e32 v2, 24, v2
	s_movk_i32 s8, 0x80
	v_and_or_b32 v6, v2, s8, v3
.LBB7_69:
	s_or_b64 exec, exec, s[10:11]
.LBB7_70:
	s_or_b64 exec, exec, s[6:7]
	s_mov_b64 s[6:7], 0
	global_store_byte v[4:5], v6, off
.LBB7_71:
	s_and_b64 vcc, exec, s[6:7]
	s_cbranch_vccz .LBB7_81
; %bb.72:
	v_cvt_f32_f64_e32 v2, v[0:1]
	v_and_b32_e32 v6, 0x7fffffff, v2
	s_mov_b32 s6, 0x43f00000
	v_cmp_gt_u32_e32 vcc, s6, v6
                                        ; implicit-def: $vgpr3
	s_and_saveexec_b64 s[6:7], vcc
	s_xor_b64 s[6:7], exec, s[6:7]
	s_cbranch_execz .LBB7_78
; %bb.73:
	s_mov_b32 s8, 0x3c7fffff
	v_cmp_lt_u32_e32 vcc, s8, v6
                                        ; implicit-def: $vgpr3
	s_and_saveexec_b64 s[8:9], vcc
	s_xor_b64 s[8:9], exec, s[8:9]
; %bb.74:
	v_bfe_u32 v3, v2, 20, 1
	s_mov_b32 s10, 0x407ffff
	v_add3_u32 v3, v2, v3, s10
	v_lshrrev_b32_e32 v6, 20, v3
	v_and_b32_e32 v3, 0xff00000, v3
	s_mov_b32 s10, 0x7f00000
	v_mov_b32_e32 v7, 0x7e
	v_cmp_ne_u32_e32 vcc, s10, v3
	v_cndmask_b32_e32 v3, v7, v6, vcc
; %bb.75:
	s_andn2_saveexec_b64 s[8:9], s[8:9]
; %bb.76:
	s_mov_b32 s10, 0x46800000
	v_add_f32_e64 v3, |v2|, s10
; %bb.77:
	s_or_b64 exec, exec, s[8:9]
                                        ; implicit-def: $vgpr6
.LBB7_78:
	s_andn2_saveexec_b64 s[6:7], s[6:7]
; %bb.79:
	s_mov_b32 s8, 0x7f800000
	v_mov_b32_e32 v3, 0x7e
	v_mov_b32_e32 v7, 0x7f
	v_cmp_lt_u32_e32 vcc, s8, v6
	v_cndmask_b32_e32 v3, v3, v7, vcc
; %bb.80:
	s_or_b64 exec, exec, s[6:7]
	v_lshrrev_b32_e32 v2, 24, v2
	s_movk_i32 s6, 0x80
	v_and_or_b32 v2, v2, s6, v3
	global_store_byte v[4:5], v2, off
.LBB7_81:
	s_mov_b64 s[6:7], 0
.LBB7_82:
	s_andn2_b64 vcc, exec, s[6:7]
	s_cbranch_vccnz .LBB7_92
; %bb.83:
	v_cvt_f32_f64_e32 v2, v[0:1]
	v_and_b32_e32 v6, 0x7fffffff, v2
	s_mov_b32 s6, 0x47800000
	v_cmp_gt_u32_e32 vcc, s6, v6
                                        ; implicit-def: $vgpr3
	s_and_saveexec_b64 s[6:7], vcc
	s_xor_b64 s[6:7], exec, s[6:7]
	s_cbranch_execz .LBB7_89
; %bb.84:
	s_mov_b32 s8, 0x387fffff
	v_cmp_lt_u32_e32 vcc, s8, v6
                                        ; implicit-def: $vgpr3
	s_and_saveexec_b64 s[8:9], vcc
	s_xor_b64 s[8:9], exec, s[8:9]
; %bb.85:
	v_bfe_u32 v3, v2, 21, 1
	s_mov_b32 s10, 0x80fffff
	v_add3_u32 v3, v2, v3, s10
	v_lshrrev_b32_e32 v3, 21, v3
; %bb.86:
	s_andn2_saveexec_b64 s[8:9], s[8:9]
; %bb.87:
	s_mov_b32 s10, 0x43000000
	v_add_f32_e64 v3, |v2|, s10
; %bb.88:
	s_or_b64 exec, exec, s[8:9]
                                        ; implicit-def: $vgpr6
.LBB7_89:
	s_andn2_saveexec_b64 s[6:7], s[6:7]
; %bb.90:
	s_mov_b32 s8, 0x7f800000
	v_mov_b32_e32 v3, 0x7c
	v_mov_b32_e32 v7, 0x7f
	v_cmp_lt_u32_e32 vcc, s8, v6
	v_cndmask_b32_e32 v3, v3, v7, vcc
; %bb.91:
	s_or_b64 exec, exec, s[6:7]
	v_lshrrev_b32_e32 v2, 24, v2
	s_movk_i32 s6, 0x80
	v_and_or_b32 v2, v2, s6, v3
	global_store_byte v[4:5], v2, off
.LBB7_92:
	s_mov_b64 s[8:9], 0
	s_mov_b64 s[6:7], -1
.LBB7_93:
	s_andn2_b64 vcc, exec, s[8:9]
	s_cbranch_vccnz .LBB7_101
; %bb.94:
	v_mov_b32_e32 v2, 14
	v_cmp_gt_i16_sdwa s[10:11], v41, v2 src0_sel:BYTE_0 src1_sel:DWORD
	s_mov_b64 s[8:9], -1
	s_and_b64 vcc, exec, s[10:11]
	s_cbranch_vccz .LBB7_98
; %bb.95:
	v_mov_b32_e32 v2, 15
	v_cmp_eq_u16_sdwa s[8:9], v41, v2 src0_sel:BYTE_0 src1_sel:DWORD
	s_mov_b64 s[4:5], -1
	s_and_b64 vcc, exec, s[8:9]
	s_cbranch_vccz .LBB7_97
; %bb.96:
	v_cvt_f32_f64_e32 v2, v[0:1]
	v_bfe_u32 v3, v2, 16, 1
	s_movk_i32 s4, 0x7fff
	v_add3_u32 v3, v2, v3, s4
	v_lshrrev_b32_e32 v3, 16, v3
	v_mov_b32_e32 v6, 0x7fc0
	v_cmp_o_f32_e32 vcc, v2, v2
	v_cndmask_b32_e32 v2, v6, v3, vcc
	global_store_short v[4:5], v2, off
	s_mov_b64 s[6:7], -1
	s_mov_b64 s[4:5], 0
.LBB7_97:
	s_mov_b64 s[8:9], 0
.LBB7_98:
	s_and_b64 vcc, exec, s[8:9]
	s_cbranch_vccz .LBB7_101
; %bb.99:
	v_mov_b32_e32 v2, 11
	v_cmp_eq_u16_sdwa s[8:9], v41, v2 src0_sel:BYTE_0 src1_sel:DWORD
	s_mov_b64 s[4:5], -1
	s_and_b64 vcc, exec, s[8:9]
	s_cbranch_vccz .LBB7_101
; %bb.100:
	v_cmp_neq_f64_e32 vcc, 0, v[0:1]
	s_mov_b64 s[4:5], 0
	v_cndmask_b32_e64 v2, 0, 1, vcc
	s_mov_b64 s[6:7], -1
	global_store_byte v[4:5], v2, off
.LBB7_101:
	s_branch .LBB7_20
.LBB7_102:
	v_mov_b32_e32 v2, 5
	v_cmp_lt_i16_sdwa s[8:9], v41, v2 src0_sel:BYTE_0 src1_sel:DWORD
	s_mov_b64 s[6:7], -1
	s_and_b64 vcc, exec, s[8:9]
	s_cbranch_vccnz .LBB7_123
; %bb.103:
	v_mov_b32_e32 v2, 8
	v_cmp_lt_i16_sdwa s[8:9], v41, v2 src0_sel:BYTE_0 src1_sel:DWORD
	s_and_b64 vcc, exec, s[8:9]
	s_cbranch_vccnz .LBB7_113
; %bb.104:
	v_mov_b32_e32 v2, 9
	v_cmp_lt_i16_sdwa s[8:9], v41, v2 src0_sel:BYTE_0 src1_sel:DWORD
	s_and_b64 vcc, exec, s[8:9]
	s_cbranch_vccnz .LBB7_110
; %bb.105:
	v_cmp_gt_i16_sdwa s[8:9], v41, v2 src0_sel:BYTE_0 src1_sel:DWORD
	s_and_b64 vcc, exec, s[8:9]
	s_cbranch_vccz .LBB7_107
; %bb.106:
	v_mov_b32_e32 v2, 0
	v_mov_b32_e32 v3, v2
	global_store_dwordx4 v[4:5], v[0:3], off
	s_mov_b64 s[6:7], 0
.LBB7_107:
	s_andn2_b64 vcc, exec, s[6:7]
	s_cbranch_vccnz .LBB7_109
; %bb.108:
	v_cvt_f32_f64_e32 v2, v[0:1]
	v_mov_b32_e32 v3, 0
	global_store_dwordx2 v[4:5], v[2:3], off
.LBB7_109:
	s_mov_b64 s[6:7], 0
.LBB7_110:
	s_andn2_b64 vcc, exec, s[6:7]
	s_cbranch_vccnz .LBB7_112
; %bb.111:
	v_cvt_f32_f64_e32 v2, v[0:1]
	v_cvt_f16_f32_e32 v2, v2
	global_store_dword v[4:5], v2, off
.LBB7_112:
	s_mov_b64 s[6:7], 0
.LBB7_113:
	s_andn2_b64 vcc, exec, s[6:7]
	s_cbranch_vccnz .LBB7_122
; %bb.114:
	v_mov_b32_e32 v2, 6
	v_cmp_lt_i16_sdwa s[8:9], v41, v2 src0_sel:BYTE_0 src1_sel:DWORD
	s_mov_b64 s[6:7], -1
	s_and_b64 vcc, exec, s[8:9]
	s_cbranch_vccnz .LBB7_120
; %bb.115:
	v_cmp_gt_i16_sdwa s[8:9], v41, v2 src0_sel:BYTE_0 src1_sel:DWORD
	s_and_b64 vcc, exec, s[8:9]
	s_cbranch_vccz .LBB7_117
; %bb.116:
	global_store_dwordx2 v[4:5], v[0:1], off
	s_mov_b64 s[6:7], 0
.LBB7_117:
	s_andn2_b64 vcc, exec, s[6:7]
	s_cbranch_vccnz .LBB7_119
; %bb.118:
	v_cvt_f32_f64_e32 v2, v[0:1]
	global_store_dword v[4:5], v2, off
.LBB7_119:
	s_mov_b64 s[6:7], 0
.LBB7_120:
	s_andn2_b64 vcc, exec, s[6:7]
	s_cbranch_vccnz .LBB7_122
; %bb.121:
	v_cvt_f32_f64_e32 v2, v[0:1]
	v_cvt_f16_f32_e32 v2, v2
	global_store_short v[4:5], v2, off
.LBB7_122:
	s_mov_b64 s[6:7], 0
.LBB7_123:
	s_andn2_b64 vcc, exec, s[6:7]
	s_cbranch_vccnz .LBB7_139
; %bb.124:
	v_mov_b32_e32 v2, 2
	v_cmp_lt_i16_sdwa s[8:9], v41, v2 src0_sel:BYTE_0 src1_sel:DWORD
	s_mov_b64 s[6:7], -1
	s_and_b64 vcc, exec, s[8:9]
	s_cbranch_vccnz .LBB7_134
; %bb.125:
	v_mov_b32_e32 v2, 3
	v_cmp_lt_i16_sdwa s[8:9], v41, v2 src0_sel:BYTE_0 src1_sel:DWORD
	s_and_b64 vcc, exec, s[8:9]
	s_cbranch_vccnz .LBB7_131
; %bb.126:
	v_cmp_gt_i16_sdwa s[8:9], v41, v2 src0_sel:BYTE_0 src1_sel:DWORD
	s_and_b64 vcc, exec, s[8:9]
	s_cbranch_vccz .LBB7_128
; %bb.127:
	v_trunc_f64_e32 v[2:3], v[0:1]
	s_movk_i32 s6, 0xffe0
	v_ldexp_f64 v[6:7], v[2:3], s6
	v_floor_f64_e32 v[6:7], v[6:7]
	v_fmac_f64_e32 v[2:3], 0xc1f00000, v[6:7]
	v_cvt_i32_f64_e32 v9, v[6:7]
	v_cvt_u32_f64_e32 v8, v[2:3]
	global_store_dwordx2 v[4:5], v[8:9], off
	s_mov_b64 s[6:7], 0
.LBB7_128:
	s_andn2_b64 vcc, exec, s[6:7]
	s_cbranch_vccnz .LBB7_130
; %bb.129:
	v_cvt_i32_f64_e32 v2, v[0:1]
	global_store_dword v[4:5], v2, off
.LBB7_130:
	s_mov_b64 s[6:7], 0
.LBB7_131:
	s_andn2_b64 vcc, exec, s[6:7]
	s_cbranch_vccnz .LBB7_133
; %bb.132:
	v_cvt_i32_f64_e32 v2, v[0:1]
	global_store_short v[4:5], v2, off
.LBB7_133:
	s_mov_b64 s[6:7], 0
.LBB7_134:
	s_andn2_b64 vcc, exec, s[6:7]
	s_cbranch_vccnz .LBB7_139
; %bb.135:
	v_mov_b32_e32 v2, 0
	v_cmp_gt_i16_sdwa s[8:9], v41, v2 src0_sel:BYTE_0 src1_sel:DWORD
	s_mov_b64 s[6:7], -1
	s_and_b64 vcc, exec, s[8:9]
	s_cbranch_vccz .LBB7_137
; %bb.136:
	v_cvt_i32_f64_e32 v2, v[0:1]
	global_store_byte v[4:5], v2, off
	s_mov_b64 s[6:7], 0
.LBB7_137:
	s_andn2_b64 vcc, exec, s[6:7]
	s_cbranch_vccnz .LBB7_139
; %bb.138:
	v_trunc_f64_e32 v[0:1], v[0:1]
	s_movk_i32 s6, 0xffe0
	v_ldexp_f64 v[2:3], v[0:1], s6
	v_floor_f64_e32 v[2:3], v[2:3]
	v_fmac_f64_e32 v[0:1], 0xc1f00000, v[2:3]
	v_cvt_u32_f64_e32 v0, v[0:1]
	global_store_byte v[4:5], v0, off
.LBB7_139:
	s_branch .LBB7_21
.LBB7_140:
	s_mov_b64 s[6:7], 0
                                        ; implicit-def: $vgpr56
	s_branch .LBB7_250
.LBB7_141:
	s_mov_b64 s[48:49], -1
                                        ; implicit-def: $vgpr0_vgpr1
.LBB7_142:
	s_mov_b64 s[6:7], 0
.LBB7_143:
	s_and_b64 vcc, exec, s[6:7]
	s_cbranch_vccz .LBB7_147
; %bb.144:
	v_cmp_eq_u16_e32 vcc, 29, v57
	s_cbranch_vccz .LBB7_146
; %bb.145:
	global_load_dwordx2 v[0:1], v[2:3], off
	s_mov_b64 s[4:5], -1
	s_mov_b64 s[48:49], 0
	s_mov_b64 s[6:7], 0
	s_waitcnt vmcnt(0)
	v_cvt_f64_u32_e32 v[4:5], v1
	v_cvt_f64_u32_e32 v[0:1], v0
	v_ldexp_f64 v[4:5], v[4:5], 32
	v_add_f64 v[0:1], v[4:5], v[0:1]
	s_branch .LBB7_148
.LBB7_146:
	s_mov_b64 s[48:49], -1
                                        ; implicit-def: $vgpr0_vgpr1
.LBB7_147:
	s_mov_b64 s[6:7], 0
.LBB7_148:
	s_and_b64 vcc, exec, s[6:7]
	s_cbranch_vccz .LBB7_166
; %bb.149:
	v_cmp_gt_i16_e32 vcc, 27, v57
	s_cbranch_vccnz .LBB7_152
; %bb.150:
	v_cmp_lt_i16_e32 vcc, 27, v57
	s_cbranch_vccz .LBB7_153
; %bb.151:
	global_load_dword v0, v[2:3], off
	s_mov_b64 s[4:5], 0
	s_waitcnt vmcnt(0)
	v_cvt_f64_u32_e32 v[0:1], v0
	s_branch .LBB7_154
.LBB7_152:
	s_mov_b64 s[4:5], -1
                                        ; implicit-def: $vgpr0_vgpr1
	s_branch .LBB7_157
.LBB7_153:
	s_mov_b64 s[4:5], -1
                                        ; implicit-def: $vgpr0_vgpr1
.LBB7_154:
	s_andn2_b64 vcc, exec, s[4:5]
	s_cbranch_vccnz .LBB7_156
; %bb.155:
	global_load_ushort v0, v[2:3], off
	s_waitcnt vmcnt(0)
	v_cvt_f64_u32_e32 v[0:1], v0
.LBB7_156:
	s_mov_b64 s[4:5], 0
.LBB7_157:
	s_andn2_b64 vcc, exec, s[4:5]
	s_cbranch_vccnz .LBB7_165
; %bb.158:
	global_load_ubyte v4, v[2:3], off
	s_movk_i32 s4, 0x7f
                                        ; implicit-def: $sgpr6_sgpr7
	s_waitcnt vmcnt(0)
	v_cmp_lt_i16_e32 vcc, s4, v4
	s_mov_b64 s[4:5], 0
	s_and_saveexec_b64 s[8:9], vcc
	s_xor_b64 s[8:9], exec, s[8:9]
	s_cbranch_execz .LBB7_178
; %bb.159:
	s_movk_i32 s4, 0x80
	v_cmp_eq_u16_e32 vcc, s4, v4
	s_mov_b64 s[10:11], -1
                                        ; implicit-def: $sgpr6_sgpr7
	s_and_saveexec_b64 s[4:5], vcc
; %bb.160:
	s_mov_b32 s7, 0x7ff80000
	s_brev_b32 s6, 4
	s_xor_b64 s[10:11], exec, -1
; %bb.161:
	s_or_b64 exec, exec, s[4:5]
	s_and_b64 s[4:5], s[10:11], exec
	s_or_saveexec_b64 s[8:9], s[8:9]
	v_pk_mov_b32 v[0:1], s[6:7], s[6:7] op_sel:[0,1]
	s_xor_b64 exec, exec, s[8:9]
	s_cbranch_execnz .LBB7_179
.LBB7_162:
	s_or_b64 exec, exec, s[8:9]
	s_and_saveexec_b64 s[6:7], s[4:5]
	s_cbranch_execz .LBB7_164
.LBB7_163:
	v_and_b32_e32 v1, 0xffff, v4
	v_lshlrev_b32_e32 v0, 24, v4
	v_and_b32_e32 v4, 7, v1
	v_ffbh_u32_e32 v6, v4
	v_min_u32_e32 v6, 32, v6
	v_subrev_u32_e32 v7, 28, v6
	v_bfe_u32 v5, v1, 3, 4
	v_lshlrev_b32_e32 v1, v7, v1
	v_sub_u32_e32 v6, 29, v6
	v_and_b32_e32 v1, 7, v1
	v_cmp_eq_u32_e32 vcc, 0, v5
	v_cndmask_b32_e32 v5, v5, v6, vcc
	v_cndmask_b32_e32 v1, v4, v1, vcc
	v_mov_b32_e32 v4, 0x3b800000
	v_lshlrev_b32_e32 v1, 20, v1
	v_and_b32_e32 v0, 0x80000000, v0
	v_lshl_add_u32 v4, v5, 23, v4
	v_or3_b32 v0, v0, v4, v1
	v_cvt_f64_f32_e32 v[0:1], v0
.LBB7_164:
	s_or_b64 exec, exec, s[6:7]
.LBB7_165:
	s_mov_b64 s[4:5], -1
.LBB7_166:
	s_branch .LBB7_201
.LBB7_167:
	v_cmp_lt_i16_e32 vcc, 22, v57
	s_cbranch_vccz .LBB7_177
; %bb.168:
	v_cmp_gt_i16_e32 vcc, 24, v57
	s_cbranch_vccnz .LBB7_180
; %bb.169:
	v_cmp_lt_i16_e32 vcc, 24, v57
	s_cbranch_vccz .LBB7_181
; %bb.170:
	global_load_ubyte v4, v[2:3], off
	s_movk_i32 s4, 0x7f
                                        ; implicit-def: $sgpr6_sgpr7
	s_waitcnt vmcnt(0)
	v_cmp_lt_i16_e32 vcc, s4, v4
	s_mov_b64 s[4:5], 0
	s_and_saveexec_b64 s[8:9], vcc
	s_xor_b64 s[8:9], exec, s[8:9]
	s_cbranch_execz .LBB7_193
; %bb.171:
	s_movk_i32 s4, 0x80
	v_cmp_eq_u16_e32 vcc, s4, v4
	s_mov_b64 s[10:11], -1
                                        ; implicit-def: $sgpr6_sgpr7
	s_and_saveexec_b64 s[4:5], vcc
; %bb.172:
	s_mov_b32 s7, 0x7ff80000
	s_brev_b32 s6, 4
	s_xor_b64 s[10:11], exec, -1
; %bb.173:
	s_or_b64 exec, exec, s[4:5]
	s_and_b64 s[4:5], s[10:11], exec
	s_or_saveexec_b64 s[8:9], s[8:9]
	v_pk_mov_b32 v[0:1], s[6:7], s[6:7] op_sel:[0,1]
	s_xor_b64 exec, exec, s[8:9]
	s_cbranch_execnz .LBB7_194
.LBB7_174:
	s_or_b64 exec, exec, s[8:9]
	s_and_saveexec_b64 s[6:7], s[4:5]
	s_cbranch_execz .LBB7_176
.LBB7_175:
	v_and_b32_e32 v1, 0xffff, v4
	v_lshlrev_b32_e32 v0, 24, v4
	v_and_b32_e32 v4, 3, v1
	v_ffbh_u32_e32 v6, v4
	v_min_u32_e32 v6, 32, v6
	v_subrev_u32_e32 v7, 29, v6
	v_bfe_u32 v5, v1, 2, 5
	v_lshlrev_b32_e32 v1, v7, v1
	v_sub_u32_e32 v6, 30, v6
	v_and_b32_e32 v1, 3, v1
	v_cmp_eq_u32_e32 vcc, 0, v5
	v_cndmask_b32_e32 v5, v5, v6, vcc
	v_cndmask_b32_e32 v1, v4, v1, vcc
	v_mov_b32_e32 v4, 0x37800000
	v_lshlrev_b32_e32 v1, 21, v1
	v_and_b32_e32 v0, 0x80000000, v0
	v_lshl_add_u32 v4, v5, 23, v4
	v_or3_b32 v0, v0, v4, v1
	v_cvt_f64_f32_e32 v[0:1], v0
.LBB7_176:
	s_or_b64 exec, exec, s[6:7]
	s_mov_b64 s[4:5], 0
	s_branch .LBB7_182
.LBB7_177:
	s_mov_b64 s[6:7], -1
                                        ; implicit-def: $vgpr0_vgpr1
	s_branch .LBB7_188
.LBB7_178:
	s_or_saveexec_b64 s[8:9], s[8:9]
	v_pk_mov_b32 v[0:1], s[6:7], s[6:7] op_sel:[0,1]
	s_xor_b64 exec, exec, s[8:9]
	s_cbranch_execz .LBB7_162
.LBB7_179:
	v_cmp_ne_u16_e32 vcc, 0, v4
	s_andn2_b64 s[4:5], s[4:5], exec
	s_and_b64 s[6:7], vcc, exec
	v_pk_mov_b32 v[0:1], 0, 0
	s_or_b64 s[4:5], s[4:5], s[6:7]
	s_or_b64 exec, exec, s[8:9]
	s_and_saveexec_b64 s[6:7], s[4:5]
	s_cbranch_execnz .LBB7_163
	s_branch .LBB7_164
.LBB7_180:
	s_mov_b64 s[4:5], -1
                                        ; implicit-def: $vgpr0_vgpr1
	s_branch .LBB7_185
.LBB7_181:
	s_mov_b64 s[4:5], -1
                                        ; implicit-def: $vgpr0_vgpr1
.LBB7_182:
	s_and_b64 vcc, exec, s[4:5]
	s_cbranch_vccz .LBB7_184
; %bb.183:
	global_load_ubyte v0, v[2:3], off
	s_mov_b32 s4, 0x7f800000
	s_waitcnt vmcnt(0)
	v_lshlrev_b32_e32 v0, 24, v0
	v_and_b32_e32 v1, 0x7f000000, v0
	v_ffbh_u32_e32 v4, v1
	v_min_u32_e32 v4, 32, v4
	v_sub_u32_e64 v4, v4, 4 clamp
	v_lshlrev_b32_e32 v6, v4, v1
	v_lshlrev_b32_e32 v4, 23, v4
	v_lshrrev_b32_e32 v6, 4, v6
	v_add_u32_e32 v5, 0x1000000, v1
	v_sub_u32_e32 v4, v6, v4
	v_ashrrev_i32_e32 v5, 8, v5
	v_add_u32_e32 v4, 0x3c000000, v4
	v_and_or_b32 v4, v5, s4, v4
	v_cmp_ne_u32_e32 vcc, 0, v1
	v_cndmask_b32_e32 v1, 0, v4, vcc
	s_brev_b32 s4, 1
	v_and_or_b32 v0, v0, s4, v1
	v_cvt_f64_f32_e32 v[0:1], v0
.LBB7_184:
	s_mov_b64 s[4:5], 0
.LBB7_185:
	s_andn2_b64 vcc, exec, s[4:5]
	s_cbranch_vccnz .LBB7_187
; %bb.186:
	global_load_ubyte v0, v[2:3], off
	s_movk_i32 s4, 0x7f00
	s_brev_b32 s5, 16
	s_waitcnt vmcnt(0)
	v_lshlrev_b16_e32 v1, 8, v0
	v_lshlrev_b32_e32 v0, 25, v0
	v_lshrrev_b32_e32 v4, 4, v0
	v_and_or_b32 v5, v1, s4, 0.5
	v_or_b32_e32 v4, 0x70000000, v4
	v_add_f32_e32 v5, -0.5, v5
	v_mul_f32_e32 v4, 0x7800000, v4
	v_cmp_gt_u32_e32 vcc, s5, v0
	v_bfe_i32 v1, v1, 0, 16
	v_cndmask_b32_e32 v0, v4, v5, vcc
	s_brev_b32 s4, 1
	v_and_or_b32 v0, v1, s4, v0
	v_cvt_f64_f32_e32 v[0:1], v0
.LBB7_187:
	s_mov_b64 s[6:7], 0
	s_mov_b64 s[4:5], -1
.LBB7_188:
	s_andn2_b64 vcc, exec, s[6:7]
	s_cbranch_vccnz .LBB7_201
; %bb.189:
	v_cmp_lt_i16_e32 vcc, 14, v57
	s_cbranch_vccz .LBB7_192
; %bb.190:
	v_cmp_eq_u16_e32 vcc, 15, v57
	s_cbranch_vccz .LBB7_195
; %bb.191:
	global_load_ushort v0, v[2:3], off
	s_mov_b64 s[4:5], -1
	s_mov_b64 s[48:49], 0
	s_waitcnt vmcnt(0)
	v_lshlrev_b32_e32 v0, 16, v0
	v_cvt_f64_f32_e32 v[0:1], v0
	s_branch .LBB7_196
.LBB7_192:
	s_mov_b64 s[6:7], -1
                                        ; implicit-def: $vgpr0_vgpr1
	s_branch .LBB7_197
.LBB7_193:
	s_or_saveexec_b64 s[8:9], s[8:9]
	v_pk_mov_b32 v[0:1], s[6:7], s[6:7] op_sel:[0,1]
	s_xor_b64 exec, exec, s[8:9]
	s_cbranch_execz .LBB7_174
.LBB7_194:
	v_cmp_ne_u16_e32 vcc, 0, v4
	s_andn2_b64 s[4:5], s[4:5], exec
	s_and_b64 s[6:7], vcc, exec
	v_pk_mov_b32 v[0:1], 0, 0
	s_or_b64 s[4:5], s[4:5], s[6:7]
	s_or_b64 exec, exec, s[8:9]
	s_and_saveexec_b64 s[6:7], s[4:5]
	s_cbranch_execnz .LBB7_175
	s_branch .LBB7_176
.LBB7_195:
	s_mov_b64 s[48:49], -1
                                        ; implicit-def: $vgpr0_vgpr1
.LBB7_196:
	s_mov_b64 s[6:7], 0
.LBB7_197:
	s_and_b64 vcc, exec, s[6:7]
	s_cbranch_vccz .LBB7_201
; %bb.198:
	v_cmp_eq_u16_e32 vcc, 11, v57
	s_cbranch_vccz .LBB7_200
; %bb.199:
	global_load_ubyte v1, v[2:3], off
	v_mov_b32_e32 v4, 0x3ff00000
	v_mov_b32_e32 v0, 0
	s_mov_b64 s[4:5], -1
	s_mov_b64 s[48:49], 0
	s_waitcnt vmcnt(0)
	v_cmp_ne_u16_e32 vcc, 0, v1
	v_cndmask_b32_e32 v1, 0, v4, vcc
	s_branch .LBB7_201
.LBB7_200:
	s_mov_b64 s[48:49], -1
                                        ; implicit-def: $vgpr0_vgpr1
.LBB7_201:
	s_branch .LBB7_10
.LBB7_202:
	v_cmp_gt_i16_e32 vcc, 5, v57
	s_cbranch_vccnz .LBB7_207
; %bb.203:
	v_cmp_gt_i16_e32 vcc, 8, v57
	s_cbranch_vccnz .LBB7_208
; %bb.204:
	v_cmp_gt_i16_e32 vcc, 9, v57
	s_cbranch_vccnz .LBB7_209
; %bb.205:
	v_cmp_lt_i16_e32 vcc, 9, v57
	s_cbranch_vccz .LBB7_210
; %bb.206:
	global_load_dwordx2 v[0:1], v[2:3], off
	s_mov_b64 s[4:5], 0
	s_branch .LBB7_211
.LBB7_207:
                                        ; implicit-def: $vgpr0_vgpr1
	s_branch .LBB7_229
.LBB7_208:
	s_mov_b64 s[4:5], -1
                                        ; implicit-def: $vgpr0_vgpr1
	s_branch .LBB7_217
.LBB7_209:
	s_mov_b64 s[4:5], -1
                                        ; implicit-def: $vgpr0_vgpr1
	s_branch .LBB7_214
.LBB7_210:
	s_mov_b64 s[4:5], -1
                                        ; implicit-def: $vgpr0_vgpr1
.LBB7_211:
	s_andn2_b64 vcc, exec, s[4:5]
	s_cbranch_vccnz .LBB7_213
; %bb.212:
	global_load_dword v0, v[2:3], off
	s_waitcnt vmcnt(0)
	v_cvt_f64_f32_e32 v[0:1], v0
.LBB7_213:
	s_mov_b64 s[4:5], 0
.LBB7_214:
	s_andn2_b64 vcc, exec, s[4:5]
	s_cbranch_vccnz .LBB7_216
; %bb.215:
	global_load_dword v0, v[2:3], off
	s_waitcnt vmcnt(0)
	v_cvt_f32_f16_e32 v0, v0
	v_cvt_f64_f32_e32 v[0:1], v0
.LBB7_216:
	s_mov_b64 s[4:5], 0
.LBB7_217:
	s_andn2_b64 vcc, exec, s[4:5]
	s_cbranch_vccnz .LBB7_228
; %bb.218:
	v_cmp_gt_i16_e32 vcc, 6, v57
	s_cbranch_vccnz .LBB7_221
; %bb.219:
	v_cmp_lt_i16_e32 vcc, 6, v57
	s_cbranch_vccz .LBB7_222
; %bb.220:
	global_load_dwordx2 v[0:1], v[2:3], off
	s_mov_b64 s[4:5], 0
	s_branch .LBB7_223
.LBB7_221:
	s_mov_b64 s[4:5], -1
                                        ; implicit-def: $vgpr0_vgpr1
	s_branch .LBB7_226
.LBB7_222:
	s_mov_b64 s[4:5], -1
                                        ; implicit-def: $vgpr0_vgpr1
.LBB7_223:
	s_andn2_b64 vcc, exec, s[4:5]
	s_cbranch_vccnz .LBB7_225
; %bb.224:
	global_load_dword v0, v[2:3], off
	s_waitcnt vmcnt(0)
	v_cvt_f64_f32_e32 v[0:1], v0
.LBB7_225:
	s_mov_b64 s[4:5], 0
.LBB7_226:
	s_andn2_b64 vcc, exec, s[4:5]
	s_cbranch_vccnz .LBB7_228
; %bb.227:
	global_load_ushort v0, v[2:3], off
	s_waitcnt vmcnt(0)
	v_cvt_f32_f16_e32 v0, v0
	v_cvt_f64_f32_e32 v[0:1], v0
.LBB7_228:
	s_cbranch_execnz .LBB7_248
.LBB7_229:
	v_cmp_gt_i16_e32 vcc, 2, v57
	s_cbranch_vccnz .LBB7_233
; %bb.230:
	v_cmp_gt_i16_e32 vcc, 3, v57
	s_cbranch_vccnz .LBB7_234
; %bb.231:
	v_cmp_lt_i16_e32 vcc, 3, v57
	s_cbranch_vccz .LBB7_235
; %bb.232:
	global_load_dwordx2 v[0:1], v[2:3], off
	s_mov_b64 s[4:5], 0
	s_waitcnt vmcnt(0)
	v_cvt_f64_i32_e32 v[4:5], v1
	v_cvt_f64_u32_e32 v[0:1], v0
	v_ldexp_f64 v[4:5], v[4:5], 32
	v_add_f64 v[0:1], v[4:5], v[0:1]
	s_branch .LBB7_236
.LBB7_233:
	s_mov_b64 s[4:5], -1
                                        ; implicit-def: $vgpr0_vgpr1
	s_branch .LBB7_242
.LBB7_234:
	s_mov_b64 s[4:5], -1
                                        ; implicit-def: $vgpr0_vgpr1
	s_branch .LBB7_239
.LBB7_235:
	s_mov_b64 s[4:5], -1
                                        ; implicit-def: $vgpr0_vgpr1
.LBB7_236:
	s_andn2_b64 vcc, exec, s[4:5]
	s_cbranch_vccnz .LBB7_238
; %bb.237:
	global_load_dword v0, v[2:3], off
	s_waitcnt vmcnt(0)
	v_cvt_f64_i32_e32 v[0:1], v0
.LBB7_238:
	s_mov_b64 s[4:5], 0
.LBB7_239:
	s_andn2_b64 vcc, exec, s[4:5]
	s_cbranch_vccnz .LBB7_241
; %bb.240:
	global_load_sshort v0, v[2:3], off
	s_waitcnt vmcnt(0)
	v_cvt_f64_i32_e32 v[0:1], v0
.LBB7_241:
	s_mov_b64 s[4:5], 0
.LBB7_242:
	s_andn2_b64 vcc, exec, s[4:5]
	s_cbranch_vccnz .LBB7_248
; %bb.243:
	v_cmp_lt_i16_e32 vcc, 0, v57
	s_cbranch_vccz .LBB7_245
; %bb.244:
	global_load_sbyte v0, v[2:3], off
	s_mov_b64 s[4:5], 0
	s_waitcnt vmcnt(0)
	v_cvt_f64_i32_e32 v[0:1], v0
	s_branch .LBB7_246
.LBB7_245:
	s_mov_b64 s[4:5], -1
                                        ; implicit-def: $vgpr0_vgpr1
.LBB7_246:
	s_andn2_b64 vcc, exec, s[4:5]
	s_cbranch_vccnz .LBB7_248
; %bb.247:
	global_load_ubyte v0, v[2:3], off
	s_waitcnt vmcnt(0)
	v_cvt_f64_u32_e32 v[0:1], v0
.LBB7_248:
	s_branch .LBB7_11
.LBB7_249:
	s_mov_b64 s[4:5], 0
                                        ; implicit-def: $vgpr56
	s_mov_b64 s[6:7], 0
.LBB7_250:
	s_and_b64 s[46:47], s[4:5], exec
	s_and_b64 s[48:49], s[48:49], exec
	s_orn2_b64 s[6:7], s[6:7], exec
.LBB7_251:
	s_or_b64 exec, exec, s[50:51]
	s_mov_b64 s[8:9], 0
	s_mov_b64 s[4:5], 0
                                        ; implicit-def: $vgpr0_vgpr1
                                        ; implicit-def: $vgpr2_vgpr3
	s_and_saveexec_b64 s[50:51], s[6:7]
	s_cbranch_execz .LBB7_260
; %bb.252:
	v_cmp_gt_i32_e32 vcc, s62, v56
	s_mov_b64 s[4:5], -1
	s_mov_b64 s[52:53], s[48:49]
	s_mov_b64 s[54:55], s[46:47]
	s_and_saveexec_b64 s[56:57], vcc
	s_cbranch_execz .LBB7_512
; %bb.253:
	s_waitcnt vmcnt(0)
	v_mul_lo_u32 v0, v56, s41
	v_ashrrev_i32_e32 v1, 31, v0
	v_mov_b32_e32 v3, s39
	v_add_co_u32_e32 v2, vcc, s38, v0
	v_addc_co_u32_e32 v3, vcc, v3, v1, vcc
	v_cmp_gt_i16_e32 vcc, 11, v57
	s_cbranch_vccnz .LBB7_263
; %bb.254:
	v_cmp_lt_i16_e32 vcc, 25, v57
	s_cbranch_vccz .LBB7_272
; %bb.255:
	v_cmp_lt_i16_e32 vcc, 28, v57
	s_cbranch_vccz .LBB7_274
	;; [unrolled: 3-line block ×4, first 2 shown]
; %bb.258:
	v_cmp_eq_u16_e32 vcc, 46, v57
	s_mov_b64 s[6:7], 0
	s_cbranch_vccz .LBB7_284
; %bb.259:
	global_load_dword v0, v[2:3], off
	s_mov_b64 s[52:53], 0
	s_waitcnt vmcnt(0)
	v_lshlrev_b32_e32 v0, 16, v0
	v_cvt_f64_f32_e32 v[0:1], v0
	s_branch .LBB7_285
.LBB7_260:
	s_or_b64 exec, exec, s[50:51]
	s_mov_b64 s[50:51], 0
	s_and_saveexec_b64 s[6:7], s[48:49]
	s_cbranch_execnz .LBB7_858
.LBB7_261:
	s_or_b64 exec, exec, s[6:7]
	s_and_saveexec_b64 s[6:7], s[54:55]
	s_xor_b64 s[6:7], exec, s[6:7]
	s_cbranch_execz .LBB7_859
.LBB7_262:
	s_waitcnt vmcnt(0)
	global_load_ubyte v3, v[0:1], off
	v_mov_b32_e32 v4, 0x3ff00000
	v_mov_b32_e32 v2, 0
	s_or_b64 s[4:5], s[4:5], exec
	s_waitcnt vmcnt(0)
	v_cmp_ne_u16_e32 vcc, 0, v3
	v_cndmask_b32_e32 v3, 0, v4, vcc
	s_or_b64 exec, exec, s[6:7]
	s_and_saveexec_b64 s[6:7], s[8:9]
	s_cbranch_execz .LBB7_905
	s_branch .LBB7_860
.LBB7_263:
	s_mov_b64 s[4:5], 0
                                        ; implicit-def: $vgpr0_vgpr1
	s_mov_b64 s[52:53], s[48:49]
	s_cbranch_execnz .LBB7_462
.LBB7_264:
	s_andn2_b64 vcc, exec, s[4:5]
	s_cbranch_vccnz .LBB7_510
.LBB7_265:
	s_getpc_b64 s[4:5]
	s_add_u32 s4, s4, _Z17bessel_j1_forwardIdET_S0_@rel32@lo+4
	s_addc_u32 s5, s5, _Z17bessel_j1_forwardIdET_S0_@rel32@hi+12
	s_swappc_b64 s[30:31], s[4:5]
	v_mul_lo_u32 v2, v56, s40
	v_ashrrev_i32_e32 v3, 31, v2
	v_mov_b32_e32 v5, s37
	v_add_co_u32_e32 v4, vcc, s36, v2
	v_mov_b32_e32 v2, 11
	v_addc_co_u32_e32 v5, vcc, v5, v3, vcc
	v_cmp_lt_i16_sdwa s[4:5], v41, v2 src0_sel:BYTE_0 src1_sel:DWORD
	s_and_b64 vcc, exec, s[4:5]
	s_cbranch_vccnz .LBB7_273
; %bb.266:
	v_mov_b32_e32 v2, 25
	v_cmp_gt_i16_sdwa s[4:5], v41, v2 src0_sel:BYTE_0 src1_sel:DWORD
	s_and_b64 vcc, exec, s[4:5]
	s_cbranch_vccz .LBB7_275
; %bb.267:
	v_mov_b32_e32 v2, 28
	v_cmp_gt_i16_sdwa s[4:5], v41, v2 src0_sel:BYTE_0 src1_sel:DWORD
	s_and_b64 vcc, exec, s[4:5]
	s_cbranch_vccz .LBB7_277
	;; [unrolled: 5-line block ×4, first 2 shown]
; %bb.270:
	v_mov_b32_e32 v2, 46
	v_cmp_eq_u16_sdwa s[6:7], v41, v2 src0_sel:BYTE_0 src1_sel:DWORD
	s_mov_b64 s[8:9], 0
	s_mov_b64 s[4:5], -1
	s_and_b64 vcc, exec, s[6:7]
	s_mov_b64 s[6:7], 0
	s_cbranch_vccz .LBB7_289
; %bb.271:
	v_cvt_f32_f64_e32 v2, v[0:1]
	v_bfe_u32 v3, v2, 16, 1
	s_movk_i32 s4, 0x7fff
	v_add3_u32 v3, v2, v3, s4
	v_lshrrev_b32_e32 v3, 16, v3
	v_mov_b32_e32 v6, 0x7fc0
	v_cmp_o_f32_e32 vcc, v2, v2
	v_cndmask_b32_e32 v2, v6, v3, vcc
	global_store_dword v[4:5], v2, off
	s_mov_b64 s[6:7], -1
	s_mov_b64 s[4:5], 0
	s_branch .LBB7_289
.LBB7_272:
	s_mov_b64 s[6:7], -1
	s_mov_b64 s[4:5], 0
	s_mov_b64 s[52:53], s[48:49]
                                        ; implicit-def: $vgpr0_vgpr1
	s_branch .LBB7_426
.LBB7_273:
	s_mov_b64 s[8:9], -1
	s_mov_b64 s[6:7], 0
	s_mov_b64 s[4:5], s[46:47]
	s_branch .LBB7_358
.LBB7_274:
	s_mov_b64 s[6:7], -1
	s_mov_b64 s[4:5], 0
	s_mov_b64 s[52:53], s[48:49]
                                        ; implicit-def: $vgpr0_vgpr1
	s_branch .LBB7_407
.LBB7_275:
	s_mov_b64 s[8:9], -1
	s_mov_b64 s[6:7], 0
	s_mov_b64 s[4:5], s[46:47]
	s_branch .LBB7_316
.LBB7_276:
	s_mov_b64 s[6:7], -1
	s_mov_b64 s[4:5], 0
	s_mov_b64 s[52:53], s[48:49]
                                        ; implicit-def: $vgpr0_vgpr1
	s_branch .LBB7_402
.LBB7_277:
	s_mov_b64 s[8:9], -1
	s_mov_b64 s[6:7], 0
	s_mov_b64 s[4:5], s[46:47]
	s_branch .LBB7_299
.LBB7_278:
	s_or_saveexec_b64 s[10:11], s[10:11]
                                        ; implicit-def: $sgpr12
	s_xor_b64 exec, exec, s[10:11]
	s_cbranch_execz .LBB7_54
.LBB7_279:
	s_mov_b32 s12, 0x46000000
	v_add_f32_e64 v3, |v2|, s12
	v_and_b32_e32 v3, 0xff, v3
	v_cmp_ne_u32_e32 vcc, 0, v3
	s_andn2_b64 s[8:9], s[8:9], exec
	s_and_b64 s[14:15], vcc, exec
	s_mov_b32 s12, 0
	s_or_b64 s[8:9], s[8:9], s[14:15]
	s_or_b64 exec, exec, s[10:11]
	v_mov_b32_e32 v6, s12
	s_and_saveexec_b64 s[10:11], s[8:9]
	s_cbranch_execnz .LBB7_55
	s_branch .LBB7_56
.LBB7_280:
	s_mov_b64 s[6:7], -1
	s_mov_b64 s[4:5], 0
	s_mov_b64 s[52:53], s[48:49]
                                        ; implicit-def: $vgpr0_vgpr1
	s_branch .LBB7_285
.LBB7_281:
	s_mov_b64 s[8:9], -1
	s_mov_b64 s[6:7], 0
	s_mov_b64 s[4:5], s[46:47]
	s_branch .LBB7_295
.LBB7_282:
	s_or_saveexec_b64 s[10:11], s[10:11]
                                        ; implicit-def: $sgpr12
	s_xor_b64 exec, exec, s[10:11]
	s_cbranch_execz .LBB7_67
.LBB7_283:
	s_mov_b32 s12, 0x42800000
	v_add_f32_e64 v3, |v2|, s12
	v_and_b32_e32 v3, 0xff, v3
	v_cmp_ne_u32_e32 vcc, 0, v3
	s_andn2_b64 s[8:9], s[8:9], exec
	s_and_b64 s[14:15], vcc, exec
	s_mov_b32 s12, 0
	s_or_b64 s[8:9], s[8:9], s[14:15]
	s_or_b64 exec, exec, s[10:11]
	v_mov_b32_e32 v6, s12
	s_and_saveexec_b64 s[10:11], s[8:9]
	s_cbranch_execnz .LBB7_68
	s_branch .LBB7_69
.LBB7_284:
	s_mov_b64 s[52:53], -1
                                        ; implicit-def: $vgpr0_vgpr1
	s_mov_b64 s[4:5], 0
.LBB7_285:
	s_and_b64 vcc, exec, s[6:7]
	s_cbranch_vccz .LBB7_401
; %bb.286:
	v_cmp_eq_u16_e32 vcc, 44, v57
	s_cbranch_vccz .LBB7_400
; %bb.287:
	global_load_ubyte v4, v[2:3], off
	s_movk_i32 s6, 0xff
	v_bfrev_b32_e32 v5, 4
	v_mov_b32_e32 v6, 0x7ff80000
	v_bfrev_b32_e32 v7, 28
	s_mov_b64 s[4:5], -1
	s_mov_b64 s[52:53], 0
	s_waitcnt vmcnt(0)
	v_lshlrev_b32_e32 v0, 23, v4
	v_cvt_f64_f32_e32 v[0:1], v0
	v_cmp_ne_u32_e32 vcc, s6, v4
	v_cndmask_b32_e32 v0, v5, v0, vcc
	v_cndmask_b32_e32 v1, v6, v1, vcc
	v_cmp_ne_u32_e32 vcc, 0, v4
	v_cndmask_b32_e32 v1, v7, v1, vcc
	v_cndmask_b32_e32 v0, 0, v0, vcc
	s_branch .LBB7_401
.LBB7_288:
	s_mov_b64 s[8:9], -1
	s_mov_b64 s[6:7], 0
	s_mov_b64 s[4:5], s[46:47]
.LBB7_289:
	s_and_b64 vcc, exec, s[8:9]
	s_cbranch_vccz .LBB7_294
; %bb.290:
	v_mov_b32_e32 v2, 44
	v_cmp_eq_u16_sdwa s[8:9], v41, v2 src0_sel:BYTE_0 src1_sel:DWORD
	s_mov_b64 s[4:5], -1
	s_and_b64 vcc, exec, s[8:9]
	s_cbranch_vccz .LBB7_294
; %bb.291:
	v_cvt_f32_f64_e32 v2, v[0:1]
	v_bfe_u32 v3, v2, 23, 8
	s_movk_i32 s4, 0xff
	v_cmp_ne_u32_e32 vcc, s4, v3
	v_mov_b32_e32 v6, 0xff
	s_and_saveexec_b64 s[6:7], vcc
; %bb.292:
	s_mov_b32 s4, 0x3fffff
	v_lshrrev_b32_e32 v6, 23, v2
	v_and_b32_e32 v7, 0x400000, v2
	v_and_or_b32 v2, v2, s4, v3
	v_cmp_ne_u32_e32 vcc, 0, v7
	v_cmp_ne_u32_e64 s[4:5], 0, v2
	s_and_b64 s[4:5], vcc, s[4:5]
	v_cndmask_b32_e64 v2, 0, 1, s[4:5]
	v_add_u32_e32 v6, v6, v2
; %bb.293:
	s_or_b64 exec, exec, s[6:7]
	s_mov_b64 s[6:7], -1
	s_mov_b64 s[4:5], 0
	global_store_byte v[4:5], v6, off
.LBB7_294:
	s_mov_b64 s[8:9], 0
.LBB7_295:
	s_and_b64 vcc, exec, s[8:9]
	s_cbranch_vccz .LBB7_298
; %bb.296:
	v_mov_b32_e32 v2, 29
	v_cmp_eq_u16_sdwa s[8:9], v41, v2 src0_sel:BYTE_0 src1_sel:DWORD
	s_mov_b64 s[4:5], -1
	s_and_b64 vcc, exec, s[8:9]
	s_cbranch_vccz .LBB7_298
; %bb.297:
	v_trunc_f64_e32 v[2:3], v[0:1]
	s_movk_i32 s4, 0xffe0
	v_ldexp_f64 v[6:7], v[2:3], s4
	v_floor_f64_e32 v[6:7], v[6:7]
	v_fmac_f64_e32 v[2:3], 0xc1f00000, v[6:7]
	v_cvt_u32_f64_e32 v9, v[6:7]
	v_cvt_u32_f64_e32 v8, v[2:3]
	global_store_dwordx2 v[4:5], v[8:9], off
	s_mov_b64 s[6:7], -1
	s_mov_b64 s[4:5], 0
.LBB7_298:
	s_mov_b64 s[8:9], 0
.LBB7_299:
	s_and_b64 vcc, exec, s[8:9]
	s_cbranch_vccz .LBB7_315
; %bb.300:
	v_mov_b32_e32 v2, 27
	v_cmp_lt_i16_sdwa s[8:9], v41, v2 src0_sel:BYTE_0 src1_sel:DWORD
	s_mov_b64 s[6:7], -1
	s_and_b64 vcc, exec, s[8:9]
	s_cbranch_vccnz .LBB7_306
; %bb.301:
	v_cmp_gt_i16_sdwa s[8:9], v41, v2 src0_sel:BYTE_0 src1_sel:DWORD
	s_and_b64 vcc, exec, s[8:9]
	v_cvt_u32_f64_e32 v2, v[0:1]
	s_cbranch_vccz .LBB7_303
; %bb.302:
	s_mov_b64 s[6:7], 0
	global_store_dword v[4:5], v2, off
.LBB7_303:
	s_andn2_b64 vcc, exec, s[6:7]
	s_cbranch_vccnz .LBB7_305
; %bb.304:
	global_store_short v[4:5], v2, off
.LBB7_305:
	s_mov_b64 s[6:7], 0
.LBB7_306:
	s_andn2_b64 vcc, exec, s[6:7]
	s_cbranch_vccnz .LBB7_314
; %bb.307:
	v_cvt_f32_f64_e32 v2, v[0:1]
	v_and_b32_e32 v3, 0x7fffffff, v2
	s_mov_b32 s6, 0x43800000
	v_cmp_gt_u32_e32 vcc, s6, v3
	v_mov_b32_e32 v6, 0x80
	s_and_saveexec_b64 s[6:7], vcc
	s_cbranch_execz .LBB7_313
; %bb.308:
	s_mov_b32 s8, 0x3bffffff
	v_cmp_lt_u32_e32 vcc, s8, v3
	s_mov_b64 s[8:9], 0
                                        ; implicit-def: $vgpr3
	s_and_saveexec_b64 s[10:11], vcc
	s_xor_b64 s[10:11], exec, s[10:11]
	s_cbranch_execz .LBB7_525
; %bb.309:
	v_bfe_u32 v3, v2, 20, 1
	s_mov_b32 s12, 0x487ffff
	v_add3_u32 v3, v2, v3, s12
	s_mov_b64 s[8:9], exec
	v_lshrrev_b32_e32 v3, 20, v3
	s_or_saveexec_b64 s[10:11], s[10:11]
                                        ; implicit-def: $sgpr12
	s_xor_b64 exec, exec, s[10:11]
	s_cbranch_execnz .LBB7_526
.LBB7_310:
	s_or_b64 exec, exec, s[10:11]
	v_mov_b32_e32 v6, s12
	s_and_saveexec_b64 s[10:11], s[8:9]
.LBB7_311:
	v_lshrrev_b32_e32 v2, 24, v2
	s_movk_i32 s8, 0x80
	v_and_or_b32 v6, v2, s8, v3
.LBB7_312:
	s_or_b64 exec, exec, s[10:11]
.LBB7_313:
	s_or_b64 exec, exec, s[6:7]
	global_store_byte v[4:5], v6, off
.LBB7_314:
	s_mov_b64 s[6:7], -1
.LBB7_315:
	s_mov_b64 s[8:9], 0
.LBB7_316:
	s_and_b64 vcc, exec, s[8:9]
	s_cbranch_vccz .LBB7_357
; %bb.317:
	v_mov_b32_e32 v2, 22
	v_cmp_gt_i16_sdwa s[10:11], v41, v2 src0_sel:BYTE_0 src1_sel:DWORD
	s_mov_b64 s[8:9], -1
	s_and_b64 vcc, exec, s[10:11]
	s_cbranch_vccz .LBB7_349
; %bb.318:
	v_mov_b32_e32 v2, 24
	v_cmp_lt_i16_sdwa s[8:9], v41, v2 src0_sel:BYTE_0 src1_sel:DWORD
	s_mov_b64 s[6:7], -1
	s_and_b64 vcc, exec, s[8:9]
	s_cbranch_vccnz .LBB7_338
; %bb.319:
	v_cmp_gt_i16_sdwa s[8:9], v41, v2 src0_sel:BYTE_0 src1_sel:DWORD
	s_and_b64 vcc, exec, s[8:9]
	s_cbranch_vccz .LBB7_327
; %bb.320:
	v_cvt_f32_f64_e32 v2, v[0:1]
	v_and_b32_e32 v3, 0x7fffffff, v2
	s_mov_b32 s6, 0x47800000
	v_cmp_gt_u32_e32 vcc, s6, v3
	v_mov_b32_e32 v6, 0x80
	s_and_saveexec_b64 s[6:7], vcc
	s_cbranch_execz .LBB7_326
; %bb.321:
	s_mov_b32 s8, 0x37ffffff
	v_cmp_lt_u32_e32 vcc, s8, v3
	s_mov_b64 s[8:9], 0
                                        ; implicit-def: $vgpr3
	s_and_saveexec_b64 s[10:11], vcc
	s_xor_b64 s[10:11], exec, s[10:11]
	s_cbranch_execz .LBB7_528
; %bb.322:
	v_bfe_u32 v3, v2, 21, 1
	s_mov_b32 s12, 0x88fffff
	v_add3_u32 v3, v2, v3, s12
	s_mov_b64 s[8:9], exec
	v_lshrrev_b32_e32 v3, 21, v3
	s_or_saveexec_b64 s[10:11], s[10:11]
                                        ; implicit-def: $sgpr12
	s_xor_b64 exec, exec, s[10:11]
	s_cbranch_execnz .LBB7_529
.LBB7_323:
	s_or_b64 exec, exec, s[10:11]
	v_mov_b32_e32 v6, s12
	s_and_saveexec_b64 s[10:11], s[8:9]
.LBB7_324:
	v_lshrrev_b32_e32 v2, 24, v2
	s_movk_i32 s8, 0x80
	v_and_or_b32 v6, v2, s8, v3
.LBB7_325:
	s_or_b64 exec, exec, s[10:11]
.LBB7_326:
	s_or_b64 exec, exec, s[6:7]
	s_mov_b64 s[6:7], 0
	global_store_byte v[4:5], v6, off
.LBB7_327:
	s_and_b64 vcc, exec, s[6:7]
	s_cbranch_vccz .LBB7_337
; %bb.328:
	v_cvt_f32_f64_e32 v2, v[0:1]
	v_and_b32_e32 v6, 0x7fffffff, v2
	s_mov_b32 s6, 0x43f00000
	v_cmp_gt_u32_e32 vcc, s6, v6
                                        ; implicit-def: $vgpr3
	s_and_saveexec_b64 s[6:7], vcc
	s_xor_b64 s[6:7], exec, s[6:7]
	s_cbranch_execz .LBB7_334
; %bb.329:
	s_mov_b32 s8, 0x3c7fffff
	v_cmp_lt_u32_e32 vcc, s8, v6
                                        ; implicit-def: $vgpr3
	s_and_saveexec_b64 s[8:9], vcc
	s_xor_b64 s[8:9], exec, s[8:9]
; %bb.330:
	v_bfe_u32 v3, v2, 20, 1
	s_mov_b32 s10, 0x407ffff
	v_add3_u32 v3, v2, v3, s10
	v_lshrrev_b32_e32 v6, 20, v3
	v_and_b32_e32 v3, 0xff00000, v3
	s_mov_b32 s10, 0x7f00000
	v_mov_b32_e32 v7, 0x7e
	v_cmp_ne_u32_e32 vcc, s10, v3
	v_cndmask_b32_e32 v3, v7, v6, vcc
; %bb.331:
	s_andn2_saveexec_b64 s[8:9], s[8:9]
; %bb.332:
	s_mov_b32 s10, 0x46800000
	v_add_f32_e64 v3, |v2|, s10
; %bb.333:
	s_or_b64 exec, exec, s[8:9]
                                        ; implicit-def: $vgpr6
.LBB7_334:
	s_andn2_saveexec_b64 s[6:7], s[6:7]
; %bb.335:
	s_mov_b32 s8, 0x7f800000
	v_mov_b32_e32 v3, 0x7e
	v_mov_b32_e32 v7, 0x7f
	v_cmp_lt_u32_e32 vcc, s8, v6
	v_cndmask_b32_e32 v3, v3, v7, vcc
; %bb.336:
	s_or_b64 exec, exec, s[6:7]
	v_lshrrev_b32_e32 v2, 24, v2
	s_movk_i32 s6, 0x80
	v_and_or_b32 v2, v2, s6, v3
	global_store_byte v[4:5], v2, off
.LBB7_337:
	s_mov_b64 s[6:7], 0
.LBB7_338:
	s_andn2_b64 vcc, exec, s[6:7]
	s_cbranch_vccnz .LBB7_348
; %bb.339:
	v_cvt_f32_f64_e32 v2, v[0:1]
	v_and_b32_e32 v6, 0x7fffffff, v2
	s_mov_b32 s6, 0x47800000
	v_cmp_gt_u32_e32 vcc, s6, v6
                                        ; implicit-def: $vgpr3
	s_and_saveexec_b64 s[6:7], vcc
	s_xor_b64 s[6:7], exec, s[6:7]
	s_cbranch_execz .LBB7_345
; %bb.340:
	s_mov_b32 s8, 0x387fffff
	v_cmp_lt_u32_e32 vcc, s8, v6
                                        ; implicit-def: $vgpr3
	s_and_saveexec_b64 s[8:9], vcc
	s_xor_b64 s[8:9], exec, s[8:9]
; %bb.341:
	v_bfe_u32 v3, v2, 21, 1
	s_mov_b32 s10, 0x80fffff
	v_add3_u32 v3, v2, v3, s10
	v_lshrrev_b32_e32 v3, 21, v3
; %bb.342:
	s_andn2_saveexec_b64 s[8:9], s[8:9]
; %bb.343:
	s_mov_b32 s10, 0x43000000
	v_add_f32_e64 v3, |v2|, s10
; %bb.344:
	s_or_b64 exec, exec, s[8:9]
                                        ; implicit-def: $vgpr6
.LBB7_345:
	s_andn2_saveexec_b64 s[6:7], s[6:7]
; %bb.346:
	s_mov_b32 s8, 0x7f800000
	v_mov_b32_e32 v3, 0x7c
	v_mov_b32_e32 v7, 0x7f
	v_cmp_lt_u32_e32 vcc, s8, v6
	v_cndmask_b32_e32 v3, v3, v7, vcc
; %bb.347:
	s_or_b64 exec, exec, s[6:7]
	v_lshrrev_b32_e32 v2, 24, v2
	s_movk_i32 s6, 0x80
	v_and_or_b32 v2, v2, s6, v3
	global_store_byte v[4:5], v2, off
.LBB7_348:
	s_mov_b64 s[8:9], 0
	s_mov_b64 s[6:7], -1
.LBB7_349:
	s_andn2_b64 vcc, exec, s[8:9]
	s_cbranch_vccnz .LBB7_357
; %bb.350:
	v_mov_b32_e32 v2, 14
	v_cmp_gt_i16_sdwa s[10:11], v41, v2 src0_sel:BYTE_0 src1_sel:DWORD
	s_mov_b64 s[8:9], -1
	s_and_b64 vcc, exec, s[10:11]
	s_cbranch_vccz .LBB7_354
; %bb.351:
	v_mov_b32_e32 v2, 15
	v_cmp_eq_u16_sdwa s[8:9], v41, v2 src0_sel:BYTE_0 src1_sel:DWORD
	s_mov_b64 s[4:5], -1
	s_and_b64 vcc, exec, s[8:9]
	s_cbranch_vccz .LBB7_353
; %bb.352:
	v_cvt_f32_f64_e32 v2, v[0:1]
	v_bfe_u32 v3, v2, 16, 1
	s_movk_i32 s4, 0x7fff
	v_add3_u32 v3, v2, v3, s4
	v_lshrrev_b32_e32 v3, 16, v3
	v_mov_b32_e32 v6, 0x7fc0
	v_cmp_o_f32_e32 vcc, v2, v2
	v_cndmask_b32_e32 v2, v6, v3, vcc
	global_store_short v[4:5], v2, off
	s_mov_b64 s[6:7], -1
	s_mov_b64 s[4:5], 0
.LBB7_353:
	s_mov_b64 s[8:9], 0
.LBB7_354:
	s_and_b64 vcc, exec, s[8:9]
	s_cbranch_vccz .LBB7_357
; %bb.355:
	v_mov_b32_e32 v2, 11
	v_cmp_eq_u16_sdwa s[8:9], v41, v2 src0_sel:BYTE_0 src1_sel:DWORD
	s_mov_b64 s[4:5], -1
	s_and_b64 vcc, exec, s[8:9]
	s_cbranch_vccz .LBB7_357
; %bb.356:
	v_cmp_neq_f64_e32 vcc, 0, v[0:1]
	s_mov_b64 s[4:5], 0
	v_cndmask_b32_e64 v2, 0, 1, vcc
	s_mov_b64 s[6:7], -1
	global_store_byte v[4:5], v2, off
.LBB7_357:
	s_mov_b64 s[8:9], 0
.LBB7_358:
	s_and_b64 vcc, exec, s[8:9]
	s_cbranch_vccz .LBB7_397
; %bb.359:
	v_mov_b32_e32 v2, 5
	v_cmp_lt_i16_sdwa s[8:9], v41, v2 src0_sel:BYTE_0 src1_sel:DWORD
	s_mov_b64 s[6:7], -1
	s_and_b64 vcc, exec, s[8:9]
	s_cbranch_vccnz .LBB7_380
; %bb.360:
	v_mov_b32_e32 v2, 8
	v_cmp_lt_i16_sdwa s[8:9], v41, v2 src0_sel:BYTE_0 src1_sel:DWORD
	s_and_b64 vcc, exec, s[8:9]
	s_cbranch_vccnz .LBB7_370
; %bb.361:
	v_mov_b32_e32 v2, 9
	v_cmp_lt_i16_sdwa s[8:9], v41, v2 src0_sel:BYTE_0 src1_sel:DWORD
	s_and_b64 vcc, exec, s[8:9]
	s_cbranch_vccnz .LBB7_367
; %bb.362:
	v_cmp_gt_i16_sdwa s[8:9], v41, v2 src0_sel:BYTE_0 src1_sel:DWORD
	s_and_b64 vcc, exec, s[8:9]
	s_cbranch_vccz .LBB7_364
; %bb.363:
	v_mov_b32_e32 v2, 0
	v_mov_b32_e32 v3, v2
	s_mov_b64 s[6:7], 0
	global_store_dwordx4 v[4:5], v[0:3], off
.LBB7_364:
	s_andn2_b64 vcc, exec, s[6:7]
	s_cbranch_vccnz .LBB7_366
; %bb.365:
	v_cvt_f32_f64_e32 v2, v[0:1]
	v_mov_b32_e32 v3, 0
	global_store_dwordx2 v[4:5], v[2:3], off
.LBB7_366:
	s_mov_b64 s[6:7], 0
.LBB7_367:
	s_andn2_b64 vcc, exec, s[6:7]
	s_cbranch_vccnz .LBB7_369
; %bb.368:
	v_cvt_f32_f64_e32 v2, v[0:1]
	v_cvt_f16_f32_e32 v2, v2
	global_store_dword v[4:5], v2, off
.LBB7_369:
	s_mov_b64 s[6:7], 0
.LBB7_370:
	s_andn2_b64 vcc, exec, s[6:7]
	s_cbranch_vccnz .LBB7_379
; %bb.371:
	v_mov_b32_e32 v2, 6
	v_cmp_lt_i16_sdwa s[8:9], v41, v2 src0_sel:BYTE_0 src1_sel:DWORD
	s_mov_b64 s[6:7], -1
	s_and_b64 vcc, exec, s[8:9]
	s_cbranch_vccnz .LBB7_377
; %bb.372:
	v_cmp_gt_i16_sdwa s[8:9], v41, v2 src0_sel:BYTE_0 src1_sel:DWORD
	s_and_b64 vcc, exec, s[8:9]
	s_cbranch_vccz .LBB7_374
; %bb.373:
	s_mov_b64 s[6:7], 0
	global_store_dwordx2 v[4:5], v[0:1], off
.LBB7_374:
	s_andn2_b64 vcc, exec, s[6:7]
	s_cbranch_vccnz .LBB7_376
; %bb.375:
	v_cvt_f32_f64_e32 v2, v[0:1]
	global_store_dword v[4:5], v2, off
.LBB7_376:
	s_mov_b64 s[6:7], 0
.LBB7_377:
	s_andn2_b64 vcc, exec, s[6:7]
	s_cbranch_vccnz .LBB7_379
; %bb.378:
	v_cvt_f32_f64_e32 v2, v[0:1]
	v_cvt_f16_f32_e32 v2, v2
	global_store_short v[4:5], v2, off
.LBB7_379:
	s_mov_b64 s[6:7], 0
.LBB7_380:
	s_andn2_b64 vcc, exec, s[6:7]
	s_cbranch_vccnz .LBB7_396
; %bb.381:
	v_mov_b32_e32 v2, 2
	v_cmp_lt_i16_sdwa s[8:9], v41, v2 src0_sel:BYTE_0 src1_sel:DWORD
	s_mov_b64 s[6:7], -1
	s_and_b64 vcc, exec, s[8:9]
	s_cbranch_vccnz .LBB7_391
; %bb.382:
	v_mov_b32_e32 v2, 3
	v_cmp_lt_i16_sdwa s[8:9], v41, v2 src0_sel:BYTE_0 src1_sel:DWORD
	s_and_b64 vcc, exec, s[8:9]
	s_cbranch_vccnz .LBB7_388
; %bb.383:
	v_cmp_gt_i16_sdwa s[8:9], v41, v2 src0_sel:BYTE_0 src1_sel:DWORD
	s_and_b64 vcc, exec, s[8:9]
	s_cbranch_vccz .LBB7_385
; %bb.384:
	v_trunc_f64_e32 v[2:3], v[0:1]
	s_movk_i32 s6, 0xffe0
	v_ldexp_f64 v[6:7], v[2:3], s6
	v_floor_f64_e32 v[6:7], v[6:7]
	v_fmac_f64_e32 v[2:3], 0xc1f00000, v[6:7]
	v_cvt_i32_f64_e32 v9, v[6:7]
	v_cvt_u32_f64_e32 v8, v[2:3]
	s_mov_b64 s[6:7], 0
	global_store_dwordx2 v[4:5], v[8:9], off
.LBB7_385:
	s_andn2_b64 vcc, exec, s[6:7]
	s_cbranch_vccnz .LBB7_387
; %bb.386:
	v_cvt_i32_f64_e32 v2, v[0:1]
	global_store_dword v[4:5], v2, off
.LBB7_387:
	s_mov_b64 s[6:7], 0
.LBB7_388:
	s_andn2_b64 vcc, exec, s[6:7]
	s_cbranch_vccnz .LBB7_390
; %bb.389:
	v_cvt_i32_f64_e32 v2, v[0:1]
	global_store_short v[4:5], v2, off
.LBB7_390:
	s_mov_b64 s[6:7], 0
.LBB7_391:
	s_andn2_b64 vcc, exec, s[6:7]
	s_cbranch_vccnz .LBB7_396
; %bb.392:
	v_mov_b32_e32 v2, 0
	v_cmp_gt_i16_sdwa s[8:9], v41, v2 src0_sel:BYTE_0 src1_sel:DWORD
	s_mov_b64 s[6:7], -1
	s_and_b64 vcc, exec, s[8:9]
	s_cbranch_vccz .LBB7_394
; %bb.393:
	v_cvt_i32_f64_e32 v2, v[0:1]
	s_mov_b64 s[6:7], 0
	global_store_byte v[4:5], v2, off
.LBB7_394:
	s_andn2_b64 vcc, exec, s[6:7]
	s_cbranch_vccnz .LBB7_396
; %bb.395:
	v_trunc_f64_e32 v[0:1], v[0:1]
	s_movk_i32 s6, 0xffe0
	v_ldexp_f64 v[2:3], v[0:1], s6
	v_floor_f64_e32 v[2:3], v[2:3]
	v_fmac_f64_e32 v[0:1], 0xc1f00000, v[2:3]
	v_cvt_u32_f64_e32 v0, v[0:1]
	global_store_byte v[4:5], v0, off
.LBB7_396:
	s_mov_b64 s[6:7], -1
.LBB7_397:
	s_andn2_b64 vcc, exec, s[6:7]
	s_cbranch_vccnz .LBB7_399
; %bb.398:
	v_add_u32_e32 v56, 0x80, v56
	s_mov_b64 s[6:7], -1
	s_branch .LBB7_511
.LBB7_399:
	s_mov_b64 s[6:7], 0
                                        ; implicit-def: $vgpr56
	s_branch .LBB7_511
.LBB7_400:
	s_mov_b64 s[52:53], -1
                                        ; implicit-def: $vgpr0_vgpr1
.LBB7_401:
	s_mov_b64 s[6:7], 0
.LBB7_402:
	s_and_b64 vcc, exec, s[6:7]
	s_cbranch_vccz .LBB7_406
; %bb.403:
	v_cmp_eq_u16_e32 vcc, 29, v57
	s_cbranch_vccz .LBB7_405
; %bb.404:
	global_load_dwordx2 v[0:1], v[2:3], off
	s_mov_b64 s[4:5], -1
	s_mov_b64 s[52:53], 0
	s_mov_b64 s[6:7], 0
	s_waitcnt vmcnt(0)
	v_cvt_f64_u32_e32 v[4:5], v1
	v_cvt_f64_u32_e32 v[0:1], v0
	v_ldexp_f64 v[4:5], v[4:5], 32
	v_add_f64 v[0:1], v[4:5], v[0:1]
	s_branch .LBB7_407
.LBB7_405:
	s_mov_b64 s[52:53], -1
                                        ; implicit-def: $vgpr0_vgpr1
.LBB7_406:
	s_mov_b64 s[6:7], 0
.LBB7_407:
	s_and_b64 vcc, exec, s[6:7]
	s_cbranch_vccz .LBB7_425
; %bb.408:
	v_cmp_gt_i16_e32 vcc, 27, v57
	s_cbranch_vccnz .LBB7_411
; %bb.409:
	v_cmp_lt_i16_e32 vcc, 27, v57
	s_cbranch_vccz .LBB7_412
; %bb.410:
	global_load_dword v0, v[2:3], off
	s_mov_b64 s[4:5], 0
	s_waitcnt vmcnt(0)
	v_cvt_f64_u32_e32 v[0:1], v0
	s_branch .LBB7_413
.LBB7_411:
	s_mov_b64 s[4:5], -1
                                        ; implicit-def: $vgpr0_vgpr1
	s_branch .LBB7_416
.LBB7_412:
	s_mov_b64 s[4:5], -1
                                        ; implicit-def: $vgpr0_vgpr1
.LBB7_413:
	s_andn2_b64 vcc, exec, s[4:5]
	s_cbranch_vccnz .LBB7_415
; %bb.414:
	global_load_ushort v0, v[2:3], off
	s_waitcnt vmcnt(0)
	v_cvt_f64_u32_e32 v[0:1], v0
.LBB7_415:
	s_mov_b64 s[4:5], 0
.LBB7_416:
	s_andn2_b64 vcc, exec, s[4:5]
	s_cbranch_vccnz .LBB7_424
; %bb.417:
	global_load_ubyte v4, v[2:3], off
	s_movk_i32 s4, 0x7f
                                        ; implicit-def: $sgpr6_sgpr7
	s_waitcnt vmcnt(0)
	v_cmp_lt_i16_e32 vcc, s4, v4
	s_mov_b64 s[4:5], 0
	s_and_saveexec_b64 s[8:9], vcc
	s_xor_b64 s[8:9], exec, s[8:9]
	s_cbranch_execz .LBB7_438
; %bb.418:
	s_movk_i32 s4, 0x80
	v_cmp_eq_u16_e32 vcc, s4, v4
	s_mov_b64 s[10:11], -1
                                        ; implicit-def: $sgpr6_sgpr7
	s_and_saveexec_b64 s[4:5], vcc
; %bb.419:
	s_mov_b32 s7, 0x7ff80000
	s_brev_b32 s6, 4
	s_xor_b64 s[10:11], exec, -1
; %bb.420:
	s_or_b64 exec, exec, s[4:5]
	s_and_b64 s[4:5], s[10:11], exec
	s_or_saveexec_b64 s[8:9], s[8:9]
	v_pk_mov_b32 v[0:1], s[6:7], s[6:7] op_sel:[0,1]
	s_xor_b64 exec, exec, s[8:9]
	s_cbranch_execnz .LBB7_439
.LBB7_421:
	s_or_b64 exec, exec, s[8:9]
	s_and_saveexec_b64 s[6:7], s[4:5]
	s_cbranch_execz .LBB7_423
.LBB7_422:
	v_and_b32_e32 v1, 0xffff, v4
	v_lshlrev_b32_e32 v0, 24, v4
	v_and_b32_e32 v4, 7, v1
	v_ffbh_u32_e32 v6, v4
	v_min_u32_e32 v6, 32, v6
	v_subrev_u32_e32 v7, 28, v6
	v_bfe_u32 v5, v1, 3, 4
	v_lshlrev_b32_e32 v1, v7, v1
	v_sub_u32_e32 v6, 29, v6
	v_and_b32_e32 v1, 7, v1
	v_cmp_eq_u32_e32 vcc, 0, v5
	v_cndmask_b32_e32 v5, v5, v6, vcc
	v_cndmask_b32_e32 v1, v4, v1, vcc
	v_mov_b32_e32 v4, 0x3b800000
	v_lshlrev_b32_e32 v1, 20, v1
	v_and_b32_e32 v0, 0x80000000, v0
	v_lshl_add_u32 v4, v5, 23, v4
	v_or3_b32 v0, v0, v4, v1
	v_cvt_f64_f32_e32 v[0:1], v0
.LBB7_423:
	s_or_b64 exec, exec, s[6:7]
.LBB7_424:
	s_mov_b64 s[4:5], -1
.LBB7_425:
	s_mov_b64 s[6:7], 0
.LBB7_426:
	s_and_b64 vcc, exec, s[6:7]
	s_cbranch_vccz .LBB7_461
; %bb.427:
	v_cmp_lt_i16_e32 vcc, 22, v57
	s_cbranch_vccz .LBB7_437
; %bb.428:
	v_cmp_gt_i16_e32 vcc, 24, v57
	s_cbranch_vccnz .LBB7_440
; %bb.429:
	v_cmp_lt_i16_e32 vcc, 24, v57
	s_cbranch_vccz .LBB7_441
; %bb.430:
	global_load_ubyte v4, v[2:3], off
	s_movk_i32 s4, 0x7f
                                        ; implicit-def: $sgpr6_sgpr7
	s_waitcnt vmcnt(0)
	v_cmp_lt_i16_e32 vcc, s4, v4
	s_mov_b64 s[4:5], 0
	s_and_saveexec_b64 s[8:9], vcc
	s_xor_b64 s[8:9], exec, s[8:9]
	s_cbranch_execz .LBB7_453
; %bb.431:
	s_movk_i32 s4, 0x80
	v_cmp_eq_u16_e32 vcc, s4, v4
	s_mov_b64 s[10:11], -1
                                        ; implicit-def: $sgpr6_sgpr7
	s_and_saveexec_b64 s[4:5], vcc
; %bb.432:
	s_mov_b32 s7, 0x7ff80000
	s_brev_b32 s6, 4
	s_xor_b64 s[10:11], exec, -1
; %bb.433:
	s_or_b64 exec, exec, s[4:5]
	s_and_b64 s[4:5], s[10:11], exec
	s_or_saveexec_b64 s[8:9], s[8:9]
	v_pk_mov_b32 v[0:1], s[6:7], s[6:7] op_sel:[0,1]
	s_xor_b64 exec, exec, s[8:9]
	s_cbranch_execnz .LBB7_454
.LBB7_434:
	s_or_b64 exec, exec, s[8:9]
	s_and_saveexec_b64 s[6:7], s[4:5]
	s_cbranch_execz .LBB7_436
.LBB7_435:
	v_and_b32_e32 v1, 0xffff, v4
	v_lshlrev_b32_e32 v0, 24, v4
	v_and_b32_e32 v4, 3, v1
	v_ffbh_u32_e32 v6, v4
	v_min_u32_e32 v6, 32, v6
	v_subrev_u32_e32 v7, 29, v6
	v_bfe_u32 v5, v1, 2, 5
	v_lshlrev_b32_e32 v1, v7, v1
	v_sub_u32_e32 v6, 30, v6
	v_and_b32_e32 v1, 3, v1
	v_cmp_eq_u32_e32 vcc, 0, v5
	v_cndmask_b32_e32 v5, v5, v6, vcc
	v_cndmask_b32_e32 v1, v4, v1, vcc
	v_mov_b32_e32 v4, 0x37800000
	v_lshlrev_b32_e32 v1, 21, v1
	v_and_b32_e32 v0, 0x80000000, v0
	v_lshl_add_u32 v4, v5, 23, v4
	v_or3_b32 v0, v0, v4, v1
	v_cvt_f64_f32_e32 v[0:1], v0
.LBB7_436:
	s_or_b64 exec, exec, s[6:7]
	s_mov_b64 s[4:5], 0
	s_branch .LBB7_442
.LBB7_437:
	s_mov_b64 s[6:7], -1
                                        ; implicit-def: $vgpr0_vgpr1
	s_branch .LBB7_448
.LBB7_438:
	s_or_saveexec_b64 s[8:9], s[8:9]
	v_pk_mov_b32 v[0:1], s[6:7], s[6:7] op_sel:[0,1]
	s_xor_b64 exec, exec, s[8:9]
	s_cbranch_execz .LBB7_421
.LBB7_439:
	v_cmp_ne_u16_e32 vcc, 0, v4
	s_andn2_b64 s[4:5], s[4:5], exec
	s_and_b64 s[6:7], vcc, exec
	v_pk_mov_b32 v[0:1], 0, 0
	s_or_b64 s[4:5], s[4:5], s[6:7]
	s_or_b64 exec, exec, s[8:9]
	s_and_saveexec_b64 s[6:7], s[4:5]
	s_cbranch_execnz .LBB7_422
	s_branch .LBB7_423
.LBB7_440:
	s_mov_b64 s[4:5], -1
                                        ; implicit-def: $vgpr0_vgpr1
	s_branch .LBB7_445
.LBB7_441:
	s_mov_b64 s[4:5], -1
                                        ; implicit-def: $vgpr0_vgpr1
.LBB7_442:
	s_and_b64 vcc, exec, s[4:5]
	s_cbranch_vccz .LBB7_444
; %bb.443:
	global_load_ubyte v0, v[2:3], off
	s_mov_b32 s4, 0x7f800000
	s_waitcnt vmcnt(0)
	v_lshlrev_b32_e32 v0, 24, v0
	v_and_b32_e32 v1, 0x7f000000, v0
	v_ffbh_u32_e32 v4, v1
	v_min_u32_e32 v4, 32, v4
	v_sub_u32_e64 v4, v4, 4 clamp
	v_lshlrev_b32_e32 v6, v4, v1
	v_lshlrev_b32_e32 v4, 23, v4
	v_lshrrev_b32_e32 v6, 4, v6
	v_add_u32_e32 v5, 0x1000000, v1
	v_sub_u32_e32 v4, v6, v4
	v_ashrrev_i32_e32 v5, 8, v5
	v_add_u32_e32 v4, 0x3c000000, v4
	v_and_or_b32 v4, v5, s4, v4
	v_cmp_ne_u32_e32 vcc, 0, v1
	v_cndmask_b32_e32 v1, 0, v4, vcc
	s_brev_b32 s4, 1
	v_and_or_b32 v0, v0, s4, v1
	v_cvt_f64_f32_e32 v[0:1], v0
.LBB7_444:
	s_mov_b64 s[4:5], 0
.LBB7_445:
	s_andn2_b64 vcc, exec, s[4:5]
	s_cbranch_vccnz .LBB7_447
; %bb.446:
	global_load_ubyte v0, v[2:3], off
	s_movk_i32 s4, 0x7f00
	s_brev_b32 s5, 16
	s_waitcnt vmcnt(0)
	v_lshlrev_b16_e32 v1, 8, v0
	v_lshlrev_b32_e32 v0, 25, v0
	v_lshrrev_b32_e32 v4, 4, v0
	v_and_or_b32 v5, v1, s4, 0.5
	v_or_b32_e32 v4, 0x70000000, v4
	v_add_f32_e32 v5, -0.5, v5
	v_mul_f32_e32 v4, 0x7800000, v4
	v_cmp_gt_u32_e32 vcc, s5, v0
	v_bfe_i32 v1, v1, 0, 16
	v_cndmask_b32_e32 v0, v4, v5, vcc
	s_brev_b32 s4, 1
	v_and_or_b32 v0, v1, s4, v0
	v_cvt_f64_f32_e32 v[0:1], v0
.LBB7_447:
	s_mov_b64 s[6:7], 0
	s_mov_b64 s[4:5], -1
.LBB7_448:
	s_andn2_b64 vcc, exec, s[6:7]
	s_cbranch_vccnz .LBB7_461
; %bb.449:
	v_cmp_lt_i16_e32 vcc, 14, v57
	s_cbranch_vccz .LBB7_452
; %bb.450:
	v_cmp_eq_u16_e32 vcc, 15, v57
	s_cbranch_vccz .LBB7_455
; %bb.451:
	global_load_ushort v0, v[2:3], off
	s_mov_b64 s[4:5], -1
	s_mov_b64 s[52:53], 0
	s_waitcnt vmcnt(0)
	v_lshlrev_b32_e32 v0, 16, v0
	v_cvt_f64_f32_e32 v[0:1], v0
	s_branch .LBB7_456
.LBB7_452:
	s_mov_b64 s[6:7], -1
                                        ; implicit-def: $vgpr0_vgpr1
	s_branch .LBB7_457
.LBB7_453:
	s_or_saveexec_b64 s[8:9], s[8:9]
	v_pk_mov_b32 v[0:1], s[6:7], s[6:7] op_sel:[0,1]
	s_xor_b64 exec, exec, s[8:9]
	s_cbranch_execz .LBB7_434
.LBB7_454:
	v_cmp_ne_u16_e32 vcc, 0, v4
	s_andn2_b64 s[4:5], s[4:5], exec
	s_and_b64 s[6:7], vcc, exec
	v_pk_mov_b32 v[0:1], 0, 0
	s_or_b64 s[4:5], s[4:5], s[6:7]
	s_or_b64 exec, exec, s[8:9]
	s_and_saveexec_b64 s[6:7], s[4:5]
	s_cbranch_execnz .LBB7_435
	s_branch .LBB7_436
.LBB7_455:
	s_mov_b64 s[52:53], -1
                                        ; implicit-def: $vgpr0_vgpr1
.LBB7_456:
	s_mov_b64 s[6:7], 0
.LBB7_457:
	s_and_b64 vcc, exec, s[6:7]
	s_cbranch_vccz .LBB7_461
; %bb.458:
	v_cmp_eq_u16_e32 vcc, 11, v57
	s_cbranch_vccz .LBB7_460
; %bb.459:
	global_load_ubyte v1, v[2:3], off
	v_mov_b32_e32 v4, 0x3ff00000
	v_mov_b32_e32 v0, 0
	s_mov_b64 s[4:5], -1
	s_mov_b64 s[52:53], 0
	s_waitcnt vmcnt(0)
	v_cmp_ne_u16_e32 vcc, 0, v1
	v_cndmask_b32_e32 v1, 0, v4, vcc
	s_branch .LBB7_461
.LBB7_460:
	s_mov_b64 s[52:53], -1
                                        ; implicit-def: $vgpr0_vgpr1
.LBB7_461:
	s_branch .LBB7_264
.LBB7_462:
	v_cmp_gt_i16_e32 vcc, 5, v57
	s_cbranch_vccnz .LBB7_467
; %bb.463:
	v_cmp_gt_i16_e32 vcc, 8, v57
	s_cbranch_vccnz .LBB7_468
; %bb.464:
	;; [unrolled: 3-line block ×3, first 2 shown]
	v_cmp_lt_i16_e32 vcc, 9, v57
	s_cbranch_vccz .LBB7_470
; %bb.466:
	global_load_dwordx2 v[0:1], v[2:3], off
	s_mov_b64 s[4:5], 0
	s_branch .LBB7_471
.LBB7_467:
	s_mov_b64 s[4:5], -1
                                        ; implicit-def: $vgpr0_vgpr1
	s_branch .LBB7_489
.LBB7_468:
	s_mov_b64 s[4:5], -1
                                        ; implicit-def: $vgpr0_vgpr1
	s_branch .LBB7_477
.LBB7_469:
	s_mov_b64 s[4:5], -1
                                        ; implicit-def: $vgpr0_vgpr1
	s_branch .LBB7_474
.LBB7_470:
	s_mov_b64 s[4:5], -1
                                        ; implicit-def: $vgpr0_vgpr1
.LBB7_471:
	s_andn2_b64 vcc, exec, s[4:5]
	s_cbranch_vccnz .LBB7_473
; %bb.472:
	global_load_dword v0, v[2:3], off
	s_waitcnt vmcnt(0)
	v_cvt_f64_f32_e32 v[0:1], v0
.LBB7_473:
	s_mov_b64 s[4:5], 0
.LBB7_474:
	s_andn2_b64 vcc, exec, s[4:5]
	s_cbranch_vccnz .LBB7_476
; %bb.475:
	global_load_dword v0, v[2:3], off
	s_waitcnt vmcnt(0)
	v_cvt_f32_f16_e32 v0, v0
	v_cvt_f64_f32_e32 v[0:1], v0
.LBB7_476:
	s_mov_b64 s[4:5], 0
.LBB7_477:
	s_andn2_b64 vcc, exec, s[4:5]
	s_cbranch_vccnz .LBB7_488
; %bb.478:
	v_cmp_gt_i16_e32 vcc, 6, v57
	s_cbranch_vccnz .LBB7_481
; %bb.479:
	v_cmp_lt_i16_e32 vcc, 6, v57
	s_cbranch_vccz .LBB7_482
; %bb.480:
	global_load_dwordx2 v[0:1], v[2:3], off
	s_mov_b64 s[4:5], 0
	s_branch .LBB7_483
.LBB7_481:
	s_mov_b64 s[4:5], -1
                                        ; implicit-def: $vgpr0_vgpr1
	s_branch .LBB7_486
.LBB7_482:
	s_mov_b64 s[4:5], -1
                                        ; implicit-def: $vgpr0_vgpr1
.LBB7_483:
	s_andn2_b64 vcc, exec, s[4:5]
	s_cbranch_vccnz .LBB7_485
; %bb.484:
	global_load_dword v0, v[2:3], off
	s_waitcnt vmcnt(0)
	v_cvt_f64_f32_e32 v[0:1], v0
.LBB7_485:
	s_mov_b64 s[4:5], 0
.LBB7_486:
	s_andn2_b64 vcc, exec, s[4:5]
	s_cbranch_vccnz .LBB7_488
; %bb.487:
	global_load_ushort v0, v[2:3], off
	s_waitcnt vmcnt(0)
	v_cvt_f32_f16_e32 v0, v0
	v_cvt_f64_f32_e32 v[0:1], v0
.LBB7_488:
	s_mov_b64 s[4:5], 0
.LBB7_489:
	s_andn2_b64 vcc, exec, s[4:5]
	s_cbranch_vccnz .LBB7_509
; %bb.490:
	v_cmp_gt_i16_e32 vcc, 2, v57
	s_cbranch_vccnz .LBB7_494
; %bb.491:
	v_cmp_gt_i16_e32 vcc, 3, v57
	s_cbranch_vccnz .LBB7_495
; %bb.492:
	v_cmp_lt_i16_e32 vcc, 3, v57
	s_cbranch_vccz .LBB7_496
; %bb.493:
	global_load_dwordx2 v[0:1], v[2:3], off
	s_mov_b64 s[4:5], 0
	s_waitcnt vmcnt(0)
	v_cvt_f64_i32_e32 v[4:5], v1
	v_cvt_f64_u32_e32 v[0:1], v0
	v_ldexp_f64 v[4:5], v[4:5], 32
	v_add_f64 v[0:1], v[4:5], v[0:1]
	s_branch .LBB7_497
.LBB7_494:
	s_mov_b64 s[4:5], -1
                                        ; implicit-def: $vgpr0_vgpr1
	s_branch .LBB7_503
.LBB7_495:
	s_mov_b64 s[4:5], -1
                                        ; implicit-def: $vgpr0_vgpr1
	s_branch .LBB7_500
.LBB7_496:
	s_mov_b64 s[4:5], -1
                                        ; implicit-def: $vgpr0_vgpr1
.LBB7_497:
	s_andn2_b64 vcc, exec, s[4:5]
	s_cbranch_vccnz .LBB7_499
; %bb.498:
	global_load_dword v0, v[2:3], off
	s_waitcnt vmcnt(0)
	v_cvt_f64_i32_e32 v[0:1], v0
.LBB7_499:
	s_mov_b64 s[4:5], 0
.LBB7_500:
	s_andn2_b64 vcc, exec, s[4:5]
	s_cbranch_vccnz .LBB7_502
; %bb.501:
	global_load_sshort v0, v[2:3], off
	s_waitcnt vmcnt(0)
	v_cvt_f64_i32_e32 v[0:1], v0
.LBB7_502:
	s_mov_b64 s[4:5], 0
.LBB7_503:
	s_andn2_b64 vcc, exec, s[4:5]
	s_cbranch_vccnz .LBB7_509
; %bb.504:
	v_cmp_lt_i16_e32 vcc, 0, v57
	s_cbranch_vccz .LBB7_506
; %bb.505:
	global_load_sbyte v0, v[2:3], off
	s_mov_b64 s[4:5], 0
	s_waitcnt vmcnt(0)
	v_cvt_f64_i32_e32 v[0:1], v0
	s_branch .LBB7_507
.LBB7_506:
	s_mov_b64 s[4:5], -1
                                        ; implicit-def: $vgpr0_vgpr1
.LBB7_507:
	s_andn2_b64 vcc, exec, s[4:5]
	s_cbranch_vccnz .LBB7_509
; %bb.508:
	global_load_ubyte v0, v[2:3], off
	s_waitcnt vmcnt(0)
	v_cvt_f64_u32_e32 v[0:1], v0
.LBB7_509:
	s_branch .LBB7_265
.LBB7_510:
	s_mov_b64 s[6:7], 0
                                        ; implicit-def: $vgpr56
	s_mov_b64 s[4:5], s[46:47]
.LBB7_511:
	s_andn2_b64 s[8:9], s[46:47], exec
	s_and_b64 s[4:5], s[4:5], exec
	s_or_b64 s[54:55], s[8:9], s[4:5]
	s_andn2_b64 s[4:5], s[48:49], exec
	s_and_b64 s[8:9], s[52:53], exec
	s_or_b64 s[52:53], s[4:5], s[8:9]
	s_orn2_b64 s[4:5], s[6:7], exec
.LBB7_512:
	s_or_b64 exec, exec, s[56:57]
	s_mov_b64 s[6:7], 0
	s_mov_b64 s[8:9], 0
	;; [unrolled: 1-line block ×3, first 2 shown]
                                        ; implicit-def: $vgpr0_vgpr1
                                        ; implicit-def: $vgpr2_vgpr3
	s_and_saveexec_b64 s[56:57], s[4:5]
	s_cbranch_execz .LBB7_857
; %bb.513:
	v_cmp_gt_i32_e32 vcc, s62, v56
	s_mov_b64 s[14:15], -1
	s_mov_b64 s[4:5], s[52:53]
	s_mov_b64 s[6:7], s[54:55]
	s_and_saveexec_b64 s[58:59], vcc
	s_cbranch_execz .LBB7_771
; %bb.514:
	s_waitcnt vmcnt(0)
	v_mul_lo_u32 v0, v56, s41
	v_ashrrev_i32_e32 v1, 31, v0
	v_mov_b32_e32 v3, s39
	v_add_co_u32_e32 v2, vcc, s38, v0
	v_addc_co_u32_e32 v3, vcc, v3, v1, vcc
	v_cmp_gt_i16_e32 vcc, 11, v57
	s_cbranch_vccnz .LBB7_521
; %bb.515:
	v_cmp_lt_i16_e32 vcc, 25, v57
	s_cbranch_vccz .LBB7_522
; %bb.516:
	v_cmp_lt_i16_e32 vcc, 28, v57
	s_cbranch_vccz .LBB7_523
	;; [unrolled: 3-line block ×4, first 2 shown]
; %bb.519:
	v_cmp_eq_u16_e32 vcc, 46, v57
	s_mov_b64 s[6:7], 0
	s_cbranch_vccz .LBB7_530
; %bb.520:
	global_load_dword v0, v[2:3], off
	s_mov_b64 s[4:5], -1
	s_mov_b64 s[60:61], 0
	s_waitcnt vmcnt(0)
	v_lshlrev_b32_e32 v0, 16, v0
	v_cvt_f64_f32_e32 v[0:1], v0
	s_branch .LBB7_531
.LBB7_521:
	s_mov_b64 s[6:7], -1
	s_mov_b64 s[4:5], 0
                                        ; implicit-def: $vgpr0_vgpr1
	s_mov_b64 s[60:61], s[52:53]
	s_branch .LBB7_596
.LBB7_522:
	s_mov_b64 s[6:7], -1
	s_mov_b64 s[4:5], 0
	s_mov_b64 s[60:61], s[52:53]
                                        ; implicit-def: $vgpr0_vgpr1
	s_branch .LBB7_560
.LBB7_523:
	s_mov_b64 s[6:7], -1
	s_mov_b64 s[4:5], 0
	s_mov_b64 s[60:61], s[52:53]
                                        ; implicit-def: $vgpr0_vgpr1
	s_branch .LBB7_541
.LBB7_524:
	s_mov_b64 s[6:7], -1
	s_mov_b64 s[4:5], 0
	s_mov_b64 s[60:61], s[52:53]
                                        ; implicit-def: $vgpr0_vgpr1
	s_branch .LBB7_536
.LBB7_525:
	s_or_saveexec_b64 s[10:11], s[10:11]
                                        ; implicit-def: $sgpr12
	s_xor_b64 exec, exec, s[10:11]
	s_cbranch_execz .LBB7_310
.LBB7_526:
	s_mov_b32 s12, 0x46000000
	v_add_f32_e64 v3, |v2|, s12
	v_and_b32_e32 v3, 0xff, v3
	v_cmp_ne_u32_e32 vcc, 0, v3
	s_andn2_b64 s[8:9], s[8:9], exec
	s_and_b64 s[14:15], vcc, exec
	s_mov_b32 s12, 0
	s_or_b64 s[8:9], s[8:9], s[14:15]
	s_or_b64 exec, exec, s[10:11]
	v_mov_b32_e32 v6, s12
	s_and_saveexec_b64 s[10:11], s[8:9]
	s_cbranch_execnz .LBB7_311
	s_branch .LBB7_312
.LBB7_527:
	s_mov_b64 s[6:7], -1
	s_mov_b64 s[4:5], 0
	s_mov_b64 s[60:61], s[52:53]
                                        ; implicit-def: $vgpr0_vgpr1
	s_branch .LBB7_531
.LBB7_528:
	s_or_saveexec_b64 s[10:11], s[10:11]
                                        ; implicit-def: $sgpr12
	s_xor_b64 exec, exec, s[10:11]
	s_cbranch_execz .LBB7_323
.LBB7_529:
	s_mov_b32 s12, 0x42800000
	v_add_f32_e64 v3, |v2|, s12
	v_and_b32_e32 v3, 0xff, v3
	v_cmp_ne_u32_e32 vcc, 0, v3
	s_andn2_b64 s[8:9], s[8:9], exec
	s_and_b64 s[14:15], vcc, exec
	s_mov_b32 s12, 0
	s_or_b64 s[8:9], s[8:9], s[14:15]
	s_or_b64 exec, exec, s[10:11]
	v_mov_b32_e32 v6, s12
	s_and_saveexec_b64 s[10:11], s[8:9]
	s_cbranch_execnz .LBB7_324
	s_branch .LBB7_325
.LBB7_530:
	s_mov_b64 s[60:61], -1
                                        ; implicit-def: $vgpr0_vgpr1
	s_mov_b64 s[4:5], 0
.LBB7_531:
	s_and_b64 vcc, exec, s[6:7]
	s_cbranch_vccz .LBB7_535
; %bb.532:
	v_cmp_eq_u16_e32 vcc, 44, v57
	s_cbranch_vccz .LBB7_534
; %bb.533:
	global_load_ubyte v4, v[2:3], off
	s_movk_i32 s6, 0xff
	v_bfrev_b32_e32 v5, 4
	v_mov_b32_e32 v6, 0x7ff80000
	v_bfrev_b32_e32 v7, 28
	s_mov_b64 s[4:5], -1
	s_mov_b64 s[60:61], 0
	s_waitcnt vmcnt(0)
	v_lshlrev_b32_e32 v0, 23, v4
	v_cvt_f64_f32_e32 v[0:1], v0
	v_cmp_ne_u32_e32 vcc, s6, v4
	v_cndmask_b32_e32 v0, v5, v0, vcc
	v_cndmask_b32_e32 v1, v6, v1, vcc
	v_cmp_ne_u32_e32 vcc, 0, v4
	v_cndmask_b32_e32 v1, v7, v1, vcc
	v_cndmask_b32_e32 v0, 0, v0, vcc
	s_branch .LBB7_535
.LBB7_534:
	s_mov_b64 s[60:61], -1
                                        ; implicit-def: $vgpr0_vgpr1
.LBB7_535:
	s_mov_b64 s[6:7], 0
.LBB7_536:
	s_and_b64 vcc, exec, s[6:7]
	s_cbranch_vccz .LBB7_540
; %bb.537:
	v_cmp_eq_u16_e32 vcc, 29, v57
	s_cbranch_vccz .LBB7_539
; %bb.538:
	global_load_dwordx2 v[0:1], v[2:3], off
	s_mov_b64 s[4:5], -1
	s_mov_b64 s[60:61], 0
	s_mov_b64 s[6:7], 0
	s_waitcnt vmcnt(0)
	v_cvt_f64_u32_e32 v[4:5], v1
	v_cvt_f64_u32_e32 v[0:1], v0
	v_ldexp_f64 v[4:5], v[4:5], 32
	v_add_f64 v[0:1], v[4:5], v[0:1]
	s_branch .LBB7_541
.LBB7_539:
	s_mov_b64 s[60:61], -1
                                        ; implicit-def: $vgpr0_vgpr1
.LBB7_540:
	s_mov_b64 s[6:7], 0
.LBB7_541:
	s_and_b64 vcc, exec, s[6:7]
	s_cbranch_vccz .LBB7_559
; %bb.542:
	v_cmp_gt_i16_e32 vcc, 27, v57
	s_cbranch_vccnz .LBB7_545
; %bb.543:
	v_cmp_lt_i16_e32 vcc, 27, v57
	s_cbranch_vccz .LBB7_546
; %bb.544:
	global_load_dword v0, v[2:3], off
	s_mov_b64 s[4:5], 0
	s_waitcnt vmcnt(0)
	v_cvt_f64_u32_e32 v[0:1], v0
	s_branch .LBB7_547
.LBB7_545:
	s_mov_b64 s[4:5], -1
                                        ; implicit-def: $vgpr0_vgpr1
	s_branch .LBB7_550
.LBB7_546:
	s_mov_b64 s[4:5], -1
                                        ; implicit-def: $vgpr0_vgpr1
.LBB7_547:
	s_andn2_b64 vcc, exec, s[4:5]
	s_cbranch_vccnz .LBB7_549
; %bb.548:
	global_load_ushort v0, v[2:3], off
	s_waitcnt vmcnt(0)
	v_cvt_f64_u32_e32 v[0:1], v0
.LBB7_549:
	s_mov_b64 s[4:5], 0
.LBB7_550:
	s_andn2_b64 vcc, exec, s[4:5]
	s_cbranch_vccnz .LBB7_558
; %bb.551:
	global_load_ubyte v4, v[2:3], off
	s_movk_i32 s4, 0x7f
                                        ; implicit-def: $sgpr6_sgpr7
	s_waitcnt vmcnt(0)
	v_cmp_lt_i16_e32 vcc, s4, v4
	s_mov_b64 s[4:5], 0
	s_and_saveexec_b64 s[8:9], vcc
	s_xor_b64 s[8:9], exec, s[8:9]
	s_cbranch_execz .LBB7_572
; %bb.552:
	s_movk_i32 s4, 0x80
	v_cmp_eq_u16_e32 vcc, s4, v4
	s_mov_b64 s[10:11], -1
                                        ; implicit-def: $sgpr6_sgpr7
	s_and_saveexec_b64 s[4:5], vcc
; %bb.553:
	s_mov_b32 s7, 0x7ff80000
	s_brev_b32 s6, 4
	s_xor_b64 s[10:11], exec, -1
; %bb.554:
	s_or_b64 exec, exec, s[4:5]
	s_and_b64 s[4:5], s[10:11], exec
	s_or_saveexec_b64 s[8:9], s[8:9]
	v_pk_mov_b32 v[0:1], s[6:7], s[6:7] op_sel:[0,1]
	s_xor_b64 exec, exec, s[8:9]
	s_cbranch_execnz .LBB7_573
.LBB7_555:
	s_or_b64 exec, exec, s[8:9]
	s_and_saveexec_b64 s[6:7], s[4:5]
	s_cbranch_execz .LBB7_557
.LBB7_556:
	v_and_b32_e32 v1, 0xffff, v4
	v_lshlrev_b32_e32 v0, 24, v4
	v_and_b32_e32 v4, 7, v1
	v_ffbh_u32_e32 v6, v4
	v_min_u32_e32 v6, 32, v6
	v_subrev_u32_e32 v7, 28, v6
	v_bfe_u32 v5, v1, 3, 4
	v_lshlrev_b32_e32 v1, v7, v1
	v_sub_u32_e32 v6, 29, v6
	v_and_b32_e32 v1, 7, v1
	v_cmp_eq_u32_e32 vcc, 0, v5
	v_cndmask_b32_e32 v5, v5, v6, vcc
	v_cndmask_b32_e32 v1, v4, v1, vcc
	v_mov_b32_e32 v4, 0x3b800000
	v_lshlrev_b32_e32 v1, 20, v1
	v_and_b32_e32 v0, 0x80000000, v0
	v_lshl_add_u32 v4, v5, 23, v4
	v_or3_b32 v0, v0, v4, v1
	v_cvt_f64_f32_e32 v[0:1], v0
.LBB7_557:
	s_or_b64 exec, exec, s[6:7]
.LBB7_558:
	s_mov_b64 s[4:5], -1
.LBB7_559:
	s_mov_b64 s[6:7], 0
.LBB7_560:
	s_and_b64 vcc, exec, s[6:7]
	s_cbranch_vccz .LBB7_595
; %bb.561:
	v_cmp_lt_i16_e32 vcc, 22, v57
	s_cbranch_vccz .LBB7_571
; %bb.562:
	v_cmp_gt_i16_e32 vcc, 24, v57
	s_cbranch_vccnz .LBB7_574
; %bb.563:
	v_cmp_lt_i16_e32 vcc, 24, v57
	s_cbranch_vccz .LBB7_575
; %bb.564:
	global_load_ubyte v4, v[2:3], off
	s_movk_i32 s4, 0x7f
                                        ; implicit-def: $sgpr6_sgpr7
	s_waitcnt vmcnt(0)
	v_cmp_lt_i16_e32 vcc, s4, v4
	s_mov_b64 s[4:5], 0
	s_and_saveexec_b64 s[8:9], vcc
	s_xor_b64 s[8:9], exec, s[8:9]
	s_cbranch_execz .LBB7_587
; %bb.565:
	s_movk_i32 s4, 0x80
	v_cmp_eq_u16_e32 vcc, s4, v4
	s_mov_b64 s[10:11], -1
                                        ; implicit-def: $sgpr6_sgpr7
	s_and_saveexec_b64 s[4:5], vcc
; %bb.566:
	s_mov_b32 s7, 0x7ff80000
	s_brev_b32 s6, 4
	s_xor_b64 s[10:11], exec, -1
; %bb.567:
	s_or_b64 exec, exec, s[4:5]
	s_and_b64 s[4:5], s[10:11], exec
	s_or_saveexec_b64 s[8:9], s[8:9]
	v_pk_mov_b32 v[0:1], s[6:7], s[6:7] op_sel:[0,1]
	s_xor_b64 exec, exec, s[8:9]
	s_cbranch_execnz .LBB7_588
.LBB7_568:
	s_or_b64 exec, exec, s[8:9]
	s_and_saveexec_b64 s[6:7], s[4:5]
	s_cbranch_execz .LBB7_570
.LBB7_569:
	v_and_b32_e32 v1, 0xffff, v4
	v_lshlrev_b32_e32 v0, 24, v4
	v_and_b32_e32 v4, 3, v1
	v_ffbh_u32_e32 v6, v4
	v_min_u32_e32 v6, 32, v6
	v_subrev_u32_e32 v7, 29, v6
	v_bfe_u32 v5, v1, 2, 5
	v_lshlrev_b32_e32 v1, v7, v1
	v_sub_u32_e32 v6, 30, v6
	v_and_b32_e32 v1, 3, v1
	v_cmp_eq_u32_e32 vcc, 0, v5
	v_cndmask_b32_e32 v5, v5, v6, vcc
	v_cndmask_b32_e32 v1, v4, v1, vcc
	v_mov_b32_e32 v4, 0x37800000
	v_lshlrev_b32_e32 v1, 21, v1
	v_and_b32_e32 v0, 0x80000000, v0
	v_lshl_add_u32 v4, v5, 23, v4
	v_or3_b32 v0, v0, v4, v1
	v_cvt_f64_f32_e32 v[0:1], v0
.LBB7_570:
	s_or_b64 exec, exec, s[6:7]
	s_mov_b64 s[4:5], 0
	s_branch .LBB7_576
.LBB7_571:
	s_mov_b64 s[6:7], -1
                                        ; implicit-def: $vgpr0_vgpr1
	s_branch .LBB7_582
.LBB7_572:
	s_or_saveexec_b64 s[8:9], s[8:9]
	v_pk_mov_b32 v[0:1], s[6:7], s[6:7] op_sel:[0,1]
	s_xor_b64 exec, exec, s[8:9]
	s_cbranch_execz .LBB7_555
.LBB7_573:
	v_cmp_ne_u16_e32 vcc, 0, v4
	s_andn2_b64 s[4:5], s[4:5], exec
	s_and_b64 s[6:7], vcc, exec
	v_pk_mov_b32 v[0:1], 0, 0
	s_or_b64 s[4:5], s[4:5], s[6:7]
	s_or_b64 exec, exec, s[8:9]
	s_and_saveexec_b64 s[6:7], s[4:5]
	s_cbranch_execnz .LBB7_556
	s_branch .LBB7_557
.LBB7_574:
	s_mov_b64 s[4:5], -1
                                        ; implicit-def: $vgpr0_vgpr1
	s_branch .LBB7_579
.LBB7_575:
	s_mov_b64 s[4:5], -1
                                        ; implicit-def: $vgpr0_vgpr1
.LBB7_576:
	s_and_b64 vcc, exec, s[4:5]
	s_cbranch_vccz .LBB7_578
; %bb.577:
	global_load_ubyte v0, v[2:3], off
	s_mov_b32 s4, 0x7f800000
	s_waitcnt vmcnt(0)
	v_lshlrev_b32_e32 v0, 24, v0
	v_and_b32_e32 v1, 0x7f000000, v0
	v_ffbh_u32_e32 v4, v1
	v_min_u32_e32 v4, 32, v4
	v_sub_u32_e64 v4, v4, 4 clamp
	v_lshlrev_b32_e32 v6, v4, v1
	v_lshlrev_b32_e32 v4, 23, v4
	v_lshrrev_b32_e32 v6, 4, v6
	v_add_u32_e32 v5, 0x1000000, v1
	v_sub_u32_e32 v4, v6, v4
	v_ashrrev_i32_e32 v5, 8, v5
	v_add_u32_e32 v4, 0x3c000000, v4
	v_and_or_b32 v4, v5, s4, v4
	v_cmp_ne_u32_e32 vcc, 0, v1
	v_cndmask_b32_e32 v1, 0, v4, vcc
	s_brev_b32 s4, 1
	v_and_or_b32 v0, v0, s4, v1
	v_cvt_f64_f32_e32 v[0:1], v0
.LBB7_578:
	s_mov_b64 s[4:5], 0
.LBB7_579:
	s_andn2_b64 vcc, exec, s[4:5]
	s_cbranch_vccnz .LBB7_581
; %bb.580:
	global_load_ubyte v0, v[2:3], off
	s_movk_i32 s4, 0x7f00
	s_brev_b32 s5, 16
	s_waitcnt vmcnt(0)
	v_lshlrev_b16_e32 v1, 8, v0
	v_lshlrev_b32_e32 v0, 25, v0
	v_lshrrev_b32_e32 v4, 4, v0
	v_and_or_b32 v5, v1, s4, 0.5
	v_or_b32_e32 v4, 0x70000000, v4
	v_add_f32_e32 v5, -0.5, v5
	v_mul_f32_e32 v4, 0x7800000, v4
	v_cmp_gt_u32_e32 vcc, s5, v0
	v_bfe_i32 v1, v1, 0, 16
	v_cndmask_b32_e32 v0, v4, v5, vcc
	s_brev_b32 s4, 1
	v_and_or_b32 v0, v1, s4, v0
	v_cvt_f64_f32_e32 v[0:1], v0
.LBB7_581:
	s_mov_b64 s[6:7], 0
	s_mov_b64 s[4:5], -1
.LBB7_582:
	s_andn2_b64 vcc, exec, s[6:7]
	s_cbranch_vccnz .LBB7_595
; %bb.583:
	v_cmp_lt_i16_e32 vcc, 14, v57
	s_cbranch_vccz .LBB7_586
; %bb.584:
	v_cmp_eq_u16_e32 vcc, 15, v57
	s_cbranch_vccz .LBB7_589
; %bb.585:
	global_load_ushort v0, v[2:3], off
	s_mov_b64 s[4:5], -1
	s_mov_b64 s[60:61], 0
	s_waitcnt vmcnt(0)
	v_lshlrev_b32_e32 v0, 16, v0
	v_cvt_f64_f32_e32 v[0:1], v0
	s_branch .LBB7_590
.LBB7_586:
	s_mov_b64 s[6:7], -1
                                        ; implicit-def: $vgpr0_vgpr1
	s_branch .LBB7_591
.LBB7_587:
	s_or_saveexec_b64 s[8:9], s[8:9]
	v_pk_mov_b32 v[0:1], s[6:7], s[6:7] op_sel:[0,1]
	s_xor_b64 exec, exec, s[8:9]
	s_cbranch_execz .LBB7_568
.LBB7_588:
	v_cmp_ne_u16_e32 vcc, 0, v4
	s_andn2_b64 s[4:5], s[4:5], exec
	s_and_b64 s[6:7], vcc, exec
	v_pk_mov_b32 v[0:1], 0, 0
	s_or_b64 s[4:5], s[4:5], s[6:7]
	s_or_b64 exec, exec, s[8:9]
	s_and_saveexec_b64 s[6:7], s[4:5]
	s_cbranch_execnz .LBB7_569
	s_branch .LBB7_570
.LBB7_589:
	s_mov_b64 s[60:61], -1
                                        ; implicit-def: $vgpr0_vgpr1
.LBB7_590:
	s_mov_b64 s[6:7], 0
.LBB7_591:
	s_and_b64 vcc, exec, s[6:7]
	s_cbranch_vccz .LBB7_595
; %bb.592:
	v_cmp_eq_u16_e32 vcc, 11, v57
	s_cbranch_vccz .LBB7_594
; %bb.593:
	global_load_ubyte v1, v[2:3], off
	v_mov_b32_e32 v4, 0x3ff00000
	v_mov_b32_e32 v0, 0
	s_mov_b64 s[4:5], -1
	s_mov_b64 s[60:61], 0
	s_waitcnt vmcnt(0)
	v_cmp_ne_u16_e32 vcc, 0, v1
	v_cndmask_b32_e32 v1, 0, v4, vcc
	s_branch .LBB7_595
.LBB7_594:
	s_mov_b64 s[60:61], -1
                                        ; implicit-def: $vgpr0_vgpr1
.LBB7_595:
	s_mov_b64 s[6:7], 0
.LBB7_596:
	s_and_b64 vcc, exec, s[6:7]
	s_cbranch_vccz .LBB7_645
; %bb.597:
	v_cmp_gt_i16_e32 vcc, 5, v57
	s_cbranch_vccnz .LBB7_602
; %bb.598:
	v_cmp_gt_i16_e32 vcc, 8, v57
	s_cbranch_vccnz .LBB7_603
	;; [unrolled: 3-line block ×3, first 2 shown]
; %bb.600:
	v_cmp_lt_i16_e32 vcc, 9, v57
	s_cbranch_vccz .LBB7_605
; %bb.601:
	global_load_dwordx2 v[0:1], v[2:3], off
	s_mov_b64 s[4:5], 0
	s_branch .LBB7_606
.LBB7_602:
	s_mov_b64 s[4:5], -1
                                        ; implicit-def: $vgpr0_vgpr1
	s_branch .LBB7_624
.LBB7_603:
	s_mov_b64 s[4:5], -1
                                        ; implicit-def: $vgpr0_vgpr1
	s_branch .LBB7_612
.LBB7_604:
	s_mov_b64 s[4:5], -1
                                        ; implicit-def: $vgpr0_vgpr1
	s_branch .LBB7_609
.LBB7_605:
	s_mov_b64 s[4:5], -1
                                        ; implicit-def: $vgpr0_vgpr1
.LBB7_606:
	s_andn2_b64 vcc, exec, s[4:5]
	s_cbranch_vccnz .LBB7_608
; %bb.607:
	global_load_dword v0, v[2:3], off
	s_waitcnt vmcnt(0)
	v_cvt_f64_f32_e32 v[0:1], v0
.LBB7_608:
	s_mov_b64 s[4:5], 0
.LBB7_609:
	s_andn2_b64 vcc, exec, s[4:5]
	s_cbranch_vccnz .LBB7_611
; %bb.610:
	global_load_dword v0, v[2:3], off
	s_waitcnt vmcnt(0)
	v_cvt_f32_f16_e32 v0, v0
	v_cvt_f64_f32_e32 v[0:1], v0
.LBB7_611:
	s_mov_b64 s[4:5], 0
.LBB7_612:
	s_andn2_b64 vcc, exec, s[4:5]
	s_cbranch_vccnz .LBB7_623
; %bb.613:
	v_cmp_gt_i16_e32 vcc, 6, v57
	s_cbranch_vccnz .LBB7_616
; %bb.614:
	v_cmp_lt_i16_e32 vcc, 6, v57
	s_cbranch_vccz .LBB7_617
; %bb.615:
	global_load_dwordx2 v[0:1], v[2:3], off
	s_mov_b64 s[4:5], 0
	s_branch .LBB7_618
.LBB7_616:
	s_mov_b64 s[4:5], -1
                                        ; implicit-def: $vgpr0_vgpr1
	s_branch .LBB7_621
.LBB7_617:
	s_mov_b64 s[4:5], -1
                                        ; implicit-def: $vgpr0_vgpr1
.LBB7_618:
	s_andn2_b64 vcc, exec, s[4:5]
	s_cbranch_vccnz .LBB7_620
; %bb.619:
	global_load_dword v0, v[2:3], off
	s_waitcnt vmcnt(0)
	v_cvt_f64_f32_e32 v[0:1], v0
.LBB7_620:
	s_mov_b64 s[4:5], 0
.LBB7_621:
	s_andn2_b64 vcc, exec, s[4:5]
	s_cbranch_vccnz .LBB7_623
; %bb.622:
	global_load_ushort v0, v[2:3], off
	s_waitcnt vmcnt(0)
	v_cvt_f32_f16_e32 v0, v0
	v_cvt_f64_f32_e32 v[0:1], v0
.LBB7_623:
	s_mov_b64 s[4:5], 0
.LBB7_624:
	s_andn2_b64 vcc, exec, s[4:5]
	s_cbranch_vccnz .LBB7_644
; %bb.625:
	v_cmp_gt_i16_e32 vcc, 2, v57
	s_cbranch_vccnz .LBB7_629
; %bb.626:
	v_cmp_gt_i16_e32 vcc, 3, v57
	s_cbranch_vccnz .LBB7_630
; %bb.627:
	v_cmp_lt_i16_e32 vcc, 3, v57
	s_cbranch_vccz .LBB7_631
; %bb.628:
	global_load_dwordx2 v[0:1], v[2:3], off
	s_mov_b64 s[4:5], 0
	s_waitcnt vmcnt(0)
	v_cvt_f64_i32_e32 v[4:5], v1
	v_cvt_f64_u32_e32 v[0:1], v0
	v_ldexp_f64 v[4:5], v[4:5], 32
	v_add_f64 v[0:1], v[4:5], v[0:1]
	s_branch .LBB7_632
.LBB7_629:
	s_mov_b64 s[4:5], -1
                                        ; implicit-def: $vgpr0_vgpr1
	s_branch .LBB7_638
.LBB7_630:
	s_mov_b64 s[4:5], -1
                                        ; implicit-def: $vgpr0_vgpr1
	s_branch .LBB7_635
.LBB7_631:
	s_mov_b64 s[4:5], -1
                                        ; implicit-def: $vgpr0_vgpr1
.LBB7_632:
	s_andn2_b64 vcc, exec, s[4:5]
	s_cbranch_vccnz .LBB7_634
; %bb.633:
	global_load_dword v0, v[2:3], off
	s_waitcnt vmcnt(0)
	v_cvt_f64_i32_e32 v[0:1], v0
.LBB7_634:
	s_mov_b64 s[4:5], 0
.LBB7_635:
	s_andn2_b64 vcc, exec, s[4:5]
	s_cbranch_vccnz .LBB7_637
; %bb.636:
	global_load_sshort v0, v[2:3], off
	s_waitcnt vmcnt(0)
	v_cvt_f64_i32_e32 v[0:1], v0
.LBB7_637:
	s_mov_b64 s[4:5], 0
.LBB7_638:
	s_andn2_b64 vcc, exec, s[4:5]
	s_cbranch_vccnz .LBB7_644
; %bb.639:
	v_cmp_lt_i16_e32 vcc, 0, v57
	s_cbranch_vccz .LBB7_641
; %bb.640:
	global_load_sbyte v0, v[2:3], off
	s_mov_b64 s[4:5], 0
	s_waitcnt vmcnt(0)
	v_cvt_f64_i32_e32 v[0:1], v0
	s_branch .LBB7_642
.LBB7_641:
	s_mov_b64 s[4:5], -1
                                        ; implicit-def: $vgpr0_vgpr1
.LBB7_642:
	s_andn2_b64 vcc, exec, s[4:5]
	s_cbranch_vccnz .LBB7_644
; %bb.643:
	global_load_ubyte v0, v[2:3], off
	s_waitcnt vmcnt(0)
	v_cvt_f64_u32_e32 v[0:1], v0
.LBB7_644:
	s_mov_b64 s[4:5], -1
.LBB7_645:
	s_andn2_b64 vcc, exec, s[4:5]
	s_cbranch_vccnz .LBB7_653
; %bb.646:
	s_getpc_b64 s[4:5]
	s_add_u32 s4, s4, _Z17bessel_j1_forwardIdET_S0_@rel32@lo+4
	s_addc_u32 s5, s5, _Z17bessel_j1_forwardIdET_S0_@rel32@hi+12
	s_swappc_b64 s[30:31], s[4:5]
	v_mul_lo_u32 v2, v56, s40
	v_ashrrev_i32_e32 v3, 31, v2
	v_mov_b32_e32 v5, s37
	v_add_co_u32_e32 v4, vcc, s36, v2
	v_mov_b32_e32 v2, 11
	v_addc_co_u32_e32 v5, vcc, v5, v3, vcc
	v_cmp_lt_i16_sdwa s[4:5], v41, v2 src0_sel:BYTE_0 src1_sel:DWORD
	s_and_b64 vcc, exec, s[4:5]
	s_cbranch_vccnz .LBB7_654
; %bb.647:
	v_mov_b32_e32 v2, 25
	v_cmp_gt_i16_sdwa s[4:5], v41, v2 src0_sel:BYTE_0 src1_sel:DWORD
	s_and_b64 vcc, exec, s[4:5]
	s_cbranch_vccz .LBB7_655
; %bb.648:
	v_mov_b32_e32 v2, 28
	v_cmp_gt_i16_sdwa s[4:5], v41, v2 src0_sel:BYTE_0 src1_sel:DWORD
	s_and_b64 vcc, exec, s[4:5]
	s_cbranch_vccz .LBB7_656
	;; [unrolled: 5-line block ×4, first 2 shown]
; %bb.651:
	v_mov_b32_e32 v2, 46
	v_cmp_eq_u16_sdwa s[6:7], v41, v2 src0_sel:BYTE_0 src1_sel:DWORD
	s_mov_b64 s[8:9], 0
	s_mov_b64 s[4:5], -1
	s_and_b64 vcc, exec, s[6:7]
	s_mov_b64 s[6:7], 0
	s_cbranch_vccz .LBB7_659
; %bb.652:
	v_cvt_f32_f64_e32 v2, v[0:1]
	v_bfe_u32 v3, v2, 16, 1
	s_movk_i32 s4, 0x7fff
	v_add3_u32 v3, v2, v3, s4
	v_lshrrev_b32_e32 v3, 16, v3
	v_mov_b32_e32 v6, 0x7fc0
	v_cmp_o_f32_e32 vcc, v2, v2
	v_cndmask_b32_e32 v2, v6, v3, vcc
	global_store_dword v[4:5], v2, off
	s_mov_b64 s[6:7], -1
	s_mov_b64 s[4:5], 0
	s_branch .LBB7_659
.LBB7_653:
	s_mov_b64 s[8:9], 0
                                        ; implicit-def: $vgpr56
	s_mov_b64 s[4:5], s[54:55]
	s_branch .LBB7_770
.LBB7_654:
	s_mov_b64 s[8:9], -1
	s_mov_b64 s[6:7], 0
	s_mov_b64 s[4:5], s[54:55]
	s_branch .LBB7_728
.LBB7_655:
	s_mov_b64 s[8:9], -1
	s_mov_b64 s[6:7], 0
	s_mov_b64 s[4:5], s[54:55]
	s_branch .LBB7_686
.LBB7_656:
	s_mov_b64 s[8:9], -1
	s_mov_b64 s[6:7], 0
	s_mov_b64 s[4:5], s[54:55]
	s_branch .LBB7_669
.LBB7_657:
	s_mov_b64 s[8:9], -1
	s_mov_b64 s[6:7], 0
	s_mov_b64 s[4:5], s[54:55]
	s_branch .LBB7_665
.LBB7_658:
	s_mov_b64 s[8:9], -1
	s_mov_b64 s[6:7], 0
	s_mov_b64 s[4:5], s[54:55]
.LBB7_659:
	s_and_b64 vcc, exec, s[8:9]
	s_cbranch_vccz .LBB7_664
; %bb.660:
	v_mov_b32_e32 v2, 44
	v_cmp_eq_u16_sdwa s[8:9], v41, v2 src0_sel:BYTE_0 src1_sel:DWORD
	s_mov_b64 s[4:5], -1
	s_and_b64 vcc, exec, s[8:9]
	s_cbranch_vccz .LBB7_664
; %bb.661:
	v_cvt_f32_f64_e32 v2, v[0:1]
	v_bfe_u32 v3, v2, 23, 8
	s_movk_i32 s4, 0xff
	v_cmp_ne_u32_e32 vcc, s4, v3
	v_mov_b32_e32 v6, 0xff
	s_and_saveexec_b64 s[6:7], vcc
; %bb.662:
	s_mov_b32 s4, 0x3fffff
	v_lshrrev_b32_e32 v6, 23, v2
	v_and_b32_e32 v7, 0x400000, v2
	v_and_or_b32 v2, v2, s4, v3
	v_cmp_ne_u32_e32 vcc, 0, v7
	v_cmp_ne_u32_e64 s[4:5], 0, v2
	s_and_b64 s[4:5], vcc, s[4:5]
	v_cndmask_b32_e64 v2, 0, 1, s[4:5]
	v_add_u32_e32 v6, v6, v2
; %bb.663:
	s_or_b64 exec, exec, s[6:7]
	s_mov_b64 s[6:7], -1
	s_mov_b64 s[4:5], 0
	global_store_byte v[4:5], v6, off
.LBB7_664:
	s_mov_b64 s[8:9], 0
.LBB7_665:
	s_and_b64 vcc, exec, s[8:9]
	s_cbranch_vccz .LBB7_668
; %bb.666:
	v_mov_b32_e32 v2, 29
	v_cmp_eq_u16_sdwa s[8:9], v41, v2 src0_sel:BYTE_0 src1_sel:DWORD
	s_mov_b64 s[4:5], -1
	s_and_b64 vcc, exec, s[8:9]
	s_cbranch_vccz .LBB7_668
; %bb.667:
	v_trunc_f64_e32 v[2:3], v[0:1]
	s_movk_i32 s4, 0xffe0
	v_ldexp_f64 v[6:7], v[2:3], s4
	v_floor_f64_e32 v[6:7], v[6:7]
	v_fmac_f64_e32 v[2:3], 0xc1f00000, v[6:7]
	v_cvt_u32_f64_e32 v9, v[6:7]
	v_cvt_u32_f64_e32 v8, v[2:3]
	global_store_dwordx2 v[4:5], v[8:9], off
	s_mov_b64 s[6:7], -1
	s_mov_b64 s[4:5], 0
.LBB7_668:
	s_mov_b64 s[8:9], 0
.LBB7_669:
	s_and_b64 vcc, exec, s[8:9]
	s_cbranch_vccz .LBB7_685
; %bb.670:
	v_mov_b32_e32 v2, 27
	v_cmp_lt_i16_sdwa s[8:9], v41, v2 src0_sel:BYTE_0 src1_sel:DWORD
	s_mov_b64 s[6:7], -1
	s_and_b64 vcc, exec, s[8:9]
	s_cbranch_vccnz .LBB7_676
; %bb.671:
	v_cmp_gt_i16_sdwa s[8:9], v41, v2 src0_sel:BYTE_0 src1_sel:DWORD
	s_and_b64 vcc, exec, s[8:9]
	v_cvt_u32_f64_e32 v2, v[0:1]
	s_cbranch_vccz .LBB7_673
; %bb.672:
	s_mov_b64 s[6:7], 0
	global_store_dword v[4:5], v2, off
.LBB7_673:
	s_andn2_b64 vcc, exec, s[6:7]
	s_cbranch_vccnz .LBB7_675
; %bb.674:
	global_store_short v[4:5], v2, off
.LBB7_675:
	s_mov_b64 s[6:7], 0
.LBB7_676:
	s_andn2_b64 vcc, exec, s[6:7]
	s_cbranch_vccnz .LBB7_684
; %bb.677:
	v_cvt_f32_f64_e32 v2, v[0:1]
	v_and_b32_e32 v3, 0x7fffffff, v2
	s_mov_b32 s6, 0x43800000
	v_cmp_gt_u32_e32 vcc, s6, v3
	v_mov_b32_e32 v6, 0x80
	s_and_saveexec_b64 s[6:7], vcc
	s_cbranch_execz .LBB7_683
; %bb.678:
	s_mov_b32 s8, 0x3bffffff
	v_cmp_lt_u32_e32 vcc, s8, v3
	s_mov_b64 s[8:9], 0
                                        ; implicit-def: $vgpr3
	s_and_saveexec_b64 s[10:11], vcc
	s_xor_b64 s[10:11], exec, s[10:11]
	s_cbranch_execz .LBB7_784
; %bb.679:
	v_bfe_u32 v3, v2, 20, 1
	s_mov_b32 s12, 0x487ffff
	v_add3_u32 v3, v2, v3, s12
	s_mov_b64 s[8:9], exec
	v_lshrrev_b32_e32 v3, 20, v3
	s_or_saveexec_b64 s[10:11], s[10:11]
                                        ; implicit-def: $sgpr12
	s_xor_b64 exec, exec, s[10:11]
	s_cbranch_execnz .LBB7_785
.LBB7_680:
	s_or_b64 exec, exec, s[10:11]
	v_mov_b32_e32 v6, s12
	s_and_saveexec_b64 s[10:11], s[8:9]
.LBB7_681:
	v_lshrrev_b32_e32 v2, 24, v2
	s_movk_i32 s8, 0x80
	v_and_or_b32 v6, v2, s8, v3
.LBB7_682:
	s_or_b64 exec, exec, s[10:11]
.LBB7_683:
	s_or_b64 exec, exec, s[6:7]
	global_store_byte v[4:5], v6, off
.LBB7_684:
	s_mov_b64 s[6:7], -1
.LBB7_685:
	s_mov_b64 s[8:9], 0
.LBB7_686:
	s_and_b64 vcc, exec, s[8:9]
	s_cbranch_vccz .LBB7_727
; %bb.687:
	v_mov_b32_e32 v2, 22
	v_cmp_gt_i16_sdwa s[10:11], v41, v2 src0_sel:BYTE_0 src1_sel:DWORD
	s_mov_b64 s[8:9], -1
	s_and_b64 vcc, exec, s[10:11]
	s_cbranch_vccz .LBB7_719
; %bb.688:
	v_mov_b32_e32 v2, 24
	v_cmp_lt_i16_sdwa s[8:9], v41, v2 src0_sel:BYTE_0 src1_sel:DWORD
	s_mov_b64 s[6:7], -1
	s_and_b64 vcc, exec, s[8:9]
	s_cbranch_vccnz .LBB7_708
; %bb.689:
	v_cmp_gt_i16_sdwa s[8:9], v41, v2 src0_sel:BYTE_0 src1_sel:DWORD
	s_and_b64 vcc, exec, s[8:9]
	s_cbranch_vccz .LBB7_697
; %bb.690:
	v_cvt_f32_f64_e32 v2, v[0:1]
	v_and_b32_e32 v3, 0x7fffffff, v2
	s_mov_b32 s6, 0x47800000
	v_cmp_gt_u32_e32 vcc, s6, v3
	v_mov_b32_e32 v6, 0x80
	s_and_saveexec_b64 s[6:7], vcc
	s_cbranch_execz .LBB7_696
; %bb.691:
	s_mov_b32 s8, 0x37ffffff
	v_cmp_lt_u32_e32 vcc, s8, v3
	s_mov_b64 s[8:9], 0
                                        ; implicit-def: $vgpr3
	s_and_saveexec_b64 s[10:11], vcc
	s_xor_b64 s[10:11], exec, s[10:11]
	s_cbranch_execz .LBB7_787
; %bb.692:
	v_bfe_u32 v3, v2, 21, 1
	s_mov_b32 s12, 0x88fffff
	v_add3_u32 v3, v2, v3, s12
	s_mov_b64 s[8:9], exec
	v_lshrrev_b32_e32 v3, 21, v3
	s_or_saveexec_b64 s[10:11], s[10:11]
                                        ; implicit-def: $sgpr12
	s_xor_b64 exec, exec, s[10:11]
	s_cbranch_execnz .LBB7_788
.LBB7_693:
	s_or_b64 exec, exec, s[10:11]
	v_mov_b32_e32 v6, s12
	s_and_saveexec_b64 s[10:11], s[8:9]
.LBB7_694:
	v_lshrrev_b32_e32 v2, 24, v2
	s_movk_i32 s8, 0x80
	v_and_or_b32 v6, v2, s8, v3
.LBB7_695:
	s_or_b64 exec, exec, s[10:11]
.LBB7_696:
	s_or_b64 exec, exec, s[6:7]
	s_mov_b64 s[6:7], 0
	global_store_byte v[4:5], v6, off
.LBB7_697:
	s_and_b64 vcc, exec, s[6:7]
	s_cbranch_vccz .LBB7_707
; %bb.698:
	v_cvt_f32_f64_e32 v2, v[0:1]
	v_and_b32_e32 v6, 0x7fffffff, v2
	s_mov_b32 s6, 0x43f00000
	v_cmp_gt_u32_e32 vcc, s6, v6
                                        ; implicit-def: $vgpr3
	s_and_saveexec_b64 s[6:7], vcc
	s_xor_b64 s[6:7], exec, s[6:7]
	s_cbranch_execz .LBB7_704
; %bb.699:
	s_mov_b32 s8, 0x3c7fffff
	v_cmp_lt_u32_e32 vcc, s8, v6
                                        ; implicit-def: $vgpr3
	s_and_saveexec_b64 s[8:9], vcc
	s_xor_b64 s[8:9], exec, s[8:9]
; %bb.700:
	v_bfe_u32 v3, v2, 20, 1
	s_mov_b32 s10, 0x407ffff
	v_add3_u32 v3, v2, v3, s10
	v_lshrrev_b32_e32 v6, 20, v3
	v_and_b32_e32 v3, 0xff00000, v3
	s_mov_b32 s10, 0x7f00000
	v_mov_b32_e32 v7, 0x7e
	v_cmp_ne_u32_e32 vcc, s10, v3
	v_cndmask_b32_e32 v3, v7, v6, vcc
; %bb.701:
	s_andn2_saveexec_b64 s[8:9], s[8:9]
; %bb.702:
	s_mov_b32 s10, 0x46800000
	v_add_f32_e64 v3, |v2|, s10
; %bb.703:
	s_or_b64 exec, exec, s[8:9]
                                        ; implicit-def: $vgpr6
.LBB7_704:
	s_andn2_saveexec_b64 s[6:7], s[6:7]
; %bb.705:
	s_mov_b32 s8, 0x7f800000
	v_mov_b32_e32 v3, 0x7e
	v_mov_b32_e32 v7, 0x7f
	v_cmp_lt_u32_e32 vcc, s8, v6
	v_cndmask_b32_e32 v3, v3, v7, vcc
; %bb.706:
	s_or_b64 exec, exec, s[6:7]
	v_lshrrev_b32_e32 v2, 24, v2
	s_movk_i32 s6, 0x80
	v_and_or_b32 v2, v2, s6, v3
	global_store_byte v[4:5], v2, off
.LBB7_707:
	s_mov_b64 s[6:7], 0
.LBB7_708:
	s_andn2_b64 vcc, exec, s[6:7]
	s_cbranch_vccnz .LBB7_718
; %bb.709:
	v_cvt_f32_f64_e32 v2, v[0:1]
	v_and_b32_e32 v6, 0x7fffffff, v2
	s_mov_b32 s6, 0x47800000
	v_cmp_gt_u32_e32 vcc, s6, v6
                                        ; implicit-def: $vgpr3
	s_and_saveexec_b64 s[6:7], vcc
	s_xor_b64 s[6:7], exec, s[6:7]
	s_cbranch_execz .LBB7_715
; %bb.710:
	s_mov_b32 s8, 0x387fffff
	v_cmp_lt_u32_e32 vcc, s8, v6
                                        ; implicit-def: $vgpr3
	s_and_saveexec_b64 s[8:9], vcc
	s_xor_b64 s[8:9], exec, s[8:9]
; %bb.711:
	v_bfe_u32 v3, v2, 21, 1
	s_mov_b32 s10, 0x80fffff
	v_add3_u32 v3, v2, v3, s10
	v_lshrrev_b32_e32 v3, 21, v3
; %bb.712:
	s_andn2_saveexec_b64 s[8:9], s[8:9]
; %bb.713:
	s_mov_b32 s10, 0x43000000
	v_add_f32_e64 v3, |v2|, s10
; %bb.714:
	s_or_b64 exec, exec, s[8:9]
                                        ; implicit-def: $vgpr6
.LBB7_715:
	s_andn2_saveexec_b64 s[6:7], s[6:7]
; %bb.716:
	s_mov_b32 s8, 0x7f800000
	v_mov_b32_e32 v3, 0x7c
	v_mov_b32_e32 v7, 0x7f
	v_cmp_lt_u32_e32 vcc, s8, v6
	v_cndmask_b32_e32 v3, v3, v7, vcc
; %bb.717:
	s_or_b64 exec, exec, s[6:7]
	v_lshrrev_b32_e32 v2, 24, v2
	s_movk_i32 s6, 0x80
	v_and_or_b32 v2, v2, s6, v3
	global_store_byte v[4:5], v2, off
.LBB7_718:
	s_mov_b64 s[8:9], 0
	s_mov_b64 s[6:7], -1
.LBB7_719:
	s_andn2_b64 vcc, exec, s[8:9]
	s_cbranch_vccnz .LBB7_727
; %bb.720:
	v_mov_b32_e32 v2, 14
	v_cmp_gt_i16_sdwa s[10:11], v41, v2 src0_sel:BYTE_0 src1_sel:DWORD
	s_mov_b64 s[8:9], -1
	s_and_b64 vcc, exec, s[10:11]
	s_cbranch_vccz .LBB7_724
; %bb.721:
	v_mov_b32_e32 v2, 15
	v_cmp_eq_u16_sdwa s[8:9], v41, v2 src0_sel:BYTE_0 src1_sel:DWORD
	s_mov_b64 s[4:5], -1
	s_and_b64 vcc, exec, s[8:9]
	s_cbranch_vccz .LBB7_723
; %bb.722:
	v_cvt_f32_f64_e32 v2, v[0:1]
	v_bfe_u32 v3, v2, 16, 1
	s_movk_i32 s4, 0x7fff
	v_add3_u32 v3, v2, v3, s4
	v_lshrrev_b32_e32 v3, 16, v3
	v_mov_b32_e32 v6, 0x7fc0
	v_cmp_o_f32_e32 vcc, v2, v2
	v_cndmask_b32_e32 v2, v6, v3, vcc
	global_store_short v[4:5], v2, off
	s_mov_b64 s[6:7], -1
	s_mov_b64 s[4:5], 0
.LBB7_723:
	s_mov_b64 s[8:9], 0
.LBB7_724:
	s_and_b64 vcc, exec, s[8:9]
	s_cbranch_vccz .LBB7_727
; %bb.725:
	v_mov_b32_e32 v2, 11
	v_cmp_eq_u16_sdwa s[8:9], v41, v2 src0_sel:BYTE_0 src1_sel:DWORD
	s_mov_b64 s[4:5], -1
	s_and_b64 vcc, exec, s[8:9]
	s_cbranch_vccz .LBB7_727
; %bb.726:
	v_cmp_neq_f64_e32 vcc, 0, v[0:1]
	s_mov_b64 s[4:5], 0
	v_cndmask_b32_e64 v2, 0, 1, vcc
	s_mov_b64 s[6:7], -1
	global_store_byte v[4:5], v2, off
.LBB7_727:
	s_mov_b64 s[8:9], 0
.LBB7_728:
	s_and_b64 vcc, exec, s[8:9]
	s_cbranch_vccz .LBB7_767
; %bb.729:
	v_mov_b32_e32 v2, 5
	v_cmp_lt_i16_sdwa s[8:9], v41, v2 src0_sel:BYTE_0 src1_sel:DWORD
	s_mov_b64 s[6:7], -1
	s_and_b64 vcc, exec, s[8:9]
	s_cbranch_vccnz .LBB7_750
; %bb.730:
	v_mov_b32_e32 v2, 8
	v_cmp_lt_i16_sdwa s[8:9], v41, v2 src0_sel:BYTE_0 src1_sel:DWORD
	s_and_b64 vcc, exec, s[8:9]
	s_cbranch_vccnz .LBB7_740
; %bb.731:
	v_mov_b32_e32 v2, 9
	v_cmp_lt_i16_sdwa s[8:9], v41, v2 src0_sel:BYTE_0 src1_sel:DWORD
	s_and_b64 vcc, exec, s[8:9]
	s_cbranch_vccnz .LBB7_737
; %bb.732:
	v_cmp_gt_i16_sdwa s[8:9], v41, v2 src0_sel:BYTE_0 src1_sel:DWORD
	s_and_b64 vcc, exec, s[8:9]
	s_cbranch_vccz .LBB7_734
; %bb.733:
	v_mov_b32_e32 v2, 0
	v_mov_b32_e32 v3, v2
	s_mov_b64 s[6:7], 0
	global_store_dwordx4 v[4:5], v[0:3], off
.LBB7_734:
	s_andn2_b64 vcc, exec, s[6:7]
	s_cbranch_vccnz .LBB7_736
; %bb.735:
	v_cvt_f32_f64_e32 v2, v[0:1]
	v_mov_b32_e32 v3, 0
	global_store_dwordx2 v[4:5], v[2:3], off
.LBB7_736:
	s_mov_b64 s[6:7], 0
.LBB7_737:
	s_andn2_b64 vcc, exec, s[6:7]
	s_cbranch_vccnz .LBB7_739
; %bb.738:
	v_cvt_f32_f64_e32 v2, v[0:1]
	v_cvt_f16_f32_e32 v2, v2
	global_store_dword v[4:5], v2, off
.LBB7_739:
	s_mov_b64 s[6:7], 0
.LBB7_740:
	s_andn2_b64 vcc, exec, s[6:7]
	s_cbranch_vccnz .LBB7_749
; %bb.741:
	v_mov_b32_e32 v2, 6
	v_cmp_lt_i16_sdwa s[8:9], v41, v2 src0_sel:BYTE_0 src1_sel:DWORD
	s_mov_b64 s[6:7], -1
	s_and_b64 vcc, exec, s[8:9]
	s_cbranch_vccnz .LBB7_747
; %bb.742:
	v_cmp_gt_i16_sdwa s[8:9], v41, v2 src0_sel:BYTE_0 src1_sel:DWORD
	s_and_b64 vcc, exec, s[8:9]
	s_cbranch_vccz .LBB7_744
; %bb.743:
	s_mov_b64 s[6:7], 0
	global_store_dwordx2 v[4:5], v[0:1], off
.LBB7_744:
	s_andn2_b64 vcc, exec, s[6:7]
	s_cbranch_vccnz .LBB7_746
; %bb.745:
	v_cvt_f32_f64_e32 v2, v[0:1]
	global_store_dword v[4:5], v2, off
.LBB7_746:
	s_mov_b64 s[6:7], 0
.LBB7_747:
	s_andn2_b64 vcc, exec, s[6:7]
	s_cbranch_vccnz .LBB7_749
; %bb.748:
	v_cvt_f32_f64_e32 v2, v[0:1]
	v_cvt_f16_f32_e32 v2, v2
	global_store_short v[4:5], v2, off
.LBB7_749:
	s_mov_b64 s[6:7], 0
.LBB7_750:
	s_andn2_b64 vcc, exec, s[6:7]
	s_cbranch_vccnz .LBB7_766
; %bb.751:
	v_mov_b32_e32 v2, 2
	v_cmp_lt_i16_sdwa s[8:9], v41, v2 src0_sel:BYTE_0 src1_sel:DWORD
	s_mov_b64 s[6:7], -1
	s_and_b64 vcc, exec, s[8:9]
	s_cbranch_vccnz .LBB7_761
; %bb.752:
	v_mov_b32_e32 v2, 3
	v_cmp_lt_i16_sdwa s[8:9], v41, v2 src0_sel:BYTE_0 src1_sel:DWORD
	s_and_b64 vcc, exec, s[8:9]
	s_cbranch_vccnz .LBB7_758
; %bb.753:
	v_cmp_gt_i16_sdwa s[8:9], v41, v2 src0_sel:BYTE_0 src1_sel:DWORD
	s_and_b64 vcc, exec, s[8:9]
	s_cbranch_vccz .LBB7_755
; %bb.754:
	v_trunc_f64_e32 v[2:3], v[0:1]
	s_movk_i32 s6, 0xffe0
	v_ldexp_f64 v[6:7], v[2:3], s6
	v_floor_f64_e32 v[6:7], v[6:7]
	v_fmac_f64_e32 v[2:3], 0xc1f00000, v[6:7]
	v_cvt_i32_f64_e32 v9, v[6:7]
	v_cvt_u32_f64_e32 v8, v[2:3]
	s_mov_b64 s[6:7], 0
	global_store_dwordx2 v[4:5], v[8:9], off
.LBB7_755:
	s_andn2_b64 vcc, exec, s[6:7]
	s_cbranch_vccnz .LBB7_757
; %bb.756:
	v_cvt_i32_f64_e32 v2, v[0:1]
	global_store_dword v[4:5], v2, off
.LBB7_757:
	s_mov_b64 s[6:7], 0
.LBB7_758:
	s_andn2_b64 vcc, exec, s[6:7]
	s_cbranch_vccnz .LBB7_760
; %bb.759:
	v_cvt_i32_f64_e32 v2, v[0:1]
	global_store_short v[4:5], v2, off
.LBB7_760:
	s_mov_b64 s[6:7], 0
.LBB7_761:
	s_andn2_b64 vcc, exec, s[6:7]
	s_cbranch_vccnz .LBB7_766
; %bb.762:
	v_mov_b32_e32 v2, 0
	v_cmp_gt_i16_sdwa s[8:9], v41, v2 src0_sel:BYTE_0 src1_sel:DWORD
	s_mov_b64 s[6:7], -1
	s_and_b64 vcc, exec, s[8:9]
	s_cbranch_vccz .LBB7_764
; %bb.763:
	v_cvt_i32_f64_e32 v2, v[0:1]
	s_mov_b64 s[6:7], 0
	global_store_byte v[4:5], v2, off
.LBB7_764:
	s_andn2_b64 vcc, exec, s[6:7]
	s_cbranch_vccnz .LBB7_766
; %bb.765:
	v_trunc_f64_e32 v[0:1], v[0:1]
	s_movk_i32 s6, 0xffe0
	v_ldexp_f64 v[2:3], v[0:1], s6
	v_floor_f64_e32 v[2:3], v[2:3]
	v_fmac_f64_e32 v[0:1], 0xc1f00000, v[2:3]
	v_cvt_u32_f64_e32 v0, v[0:1]
	global_store_byte v[4:5], v0, off
.LBB7_766:
	s_mov_b64 s[6:7], -1
.LBB7_767:
	s_andn2_b64 vcc, exec, s[6:7]
	s_cbranch_vccnz .LBB7_769
; %bb.768:
	v_add_u32_e32 v56, 0x80, v56
	s_mov_b64 s[8:9], -1
	s_branch .LBB7_770
.LBB7_769:
	s_mov_b64 s[8:9], 0
                                        ; implicit-def: $vgpr56
.LBB7_770:
	s_andn2_b64 s[6:7], s[54:55], exec
	s_and_b64 s[4:5], s[4:5], exec
	s_or_b64 s[6:7], s[6:7], s[4:5]
	s_andn2_b64 s[4:5], s[52:53], exec
	s_and_b64 s[10:11], s[60:61], exec
	s_or_b64 s[4:5], s[4:5], s[10:11]
	s_orn2_b64 s[14:15], s[8:9], exec
.LBB7_771:
	s_or_b64 exec, exec, s[58:59]
	s_mov_b64 s[12:13], 0
	s_mov_b64 s[16:17], 0
	;; [unrolled: 1-line block ×3, first 2 shown]
                                        ; implicit-def: $vgpr0_vgpr1
                                        ; implicit-def: $vgpr2_vgpr3
	s_and_saveexec_b64 s[8:9], s[14:15]
	s_cbranch_execz .LBB7_856
; %bb.772:
	v_cmp_gt_i32_e32 vcc, s62, v56
	s_mov_b64 s[14:15], 0
	s_mov_b64 s[18:19], s[4:5]
	;; [unrolled: 1-line block ×3, first 2 shown]
                                        ; implicit-def: $vgpr0_vgpr1
                                        ; implicit-def: $vgpr2_vgpr3
	s_and_saveexec_b64 s[10:11], vcc
	s_cbranch_execz .LBB7_855
; %bb.773:
	s_waitcnt vmcnt(0)
	v_mul_lo_u32 v0, v56, s41
	v_ashrrev_i32_e32 v1, 31, v0
	v_mov_b32_e32 v2, s39
	v_add_co_u32_e32 v0, vcc, s38, v0
	v_addc_co_u32_e32 v1, vcc, v2, v1, vcc
	v_cmp_gt_i16_e32 vcc, 11, v57
	s_cbranch_vccnz .LBB7_780
; %bb.774:
	v_cmp_lt_i16_e32 vcc, 25, v57
	s_cbranch_vccz .LBB7_781
; %bb.775:
	v_cmp_lt_i16_e32 vcc, 28, v57
	s_cbranch_vccz .LBB7_782
	;; [unrolled: 3-line block ×4, first 2 shown]
; %bb.778:
	v_cmp_eq_u16_e32 vcc, 46, v57
	s_mov_b64 s[18:19], 0
	s_cbranch_vccz .LBB7_789
; %bb.779:
	global_load_dword v2, v[0:1], off
	s_mov_b64 s[16:17], -1
	s_waitcnt vmcnt(0)
	v_lshlrev_b32_e32 v2, 16, v2
	v_cvt_f64_f32_e32 v[2:3], v2
	s_branch .LBB7_791
.LBB7_780:
	s_mov_b64 s[18:19], -1
                                        ; implicit-def: $vgpr2_vgpr3
	s_mov_b64 s[12:13], s[4:5]
	s_branch .LBB7_854
.LBB7_781:
	s_mov_b64 s[18:19], -1
	s_mov_b64 s[12:13], s[4:5]
                                        ; implicit-def: $vgpr2_vgpr3
	s_branch .LBB7_820
.LBB7_782:
	s_mov_b64 s[18:19], -1
	s_mov_b64 s[12:13], s[4:5]
                                        ; implicit-def: $vgpr2_vgpr3
	s_branch .LBB7_801
.LBB7_783:
	s_mov_b64 s[18:19], -1
	s_mov_b64 s[12:13], s[4:5]
                                        ; implicit-def: $vgpr2_vgpr3
	s_branch .LBB7_796
.LBB7_784:
	s_or_saveexec_b64 s[10:11], s[10:11]
                                        ; implicit-def: $sgpr12
	s_xor_b64 exec, exec, s[10:11]
	s_cbranch_execz .LBB7_680
.LBB7_785:
	s_mov_b32 s12, 0x46000000
	v_add_f32_e64 v3, |v2|, s12
	v_and_b32_e32 v3, 0xff, v3
	v_cmp_ne_u32_e32 vcc, 0, v3
	s_andn2_b64 s[8:9], s[8:9], exec
	s_and_b64 s[14:15], vcc, exec
	s_mov_b32 s12, 0
	s_or_b64 s[8:9], s[8:9], s[14:15]
	s_or_b64 exec, exec, s[10:11]
	v_mov_b32_e32 v6, s12
	s_and_saveexec_b64 s[10:11], s[8:9]
	s_cbranch_execnz .LBB7_681
	s_branch .LBB7_682
.LBB7_786:
	s_mov_b64 s[18:19], -1
	s_mov_b64 s[12:13], s[4:5]
	s_branch .LBB7_790
.LBB7_787:
	s_or_saveexec_b64 s[10:11], s[10:11]
                                        ; implicit-def: $sgpr12
	s_xor_b64 exec, exec, s[10:11]
	s_cbranch_execz .LBB7_693
.LBB7_788:
	s_mov_b32 s12, 0x42800000
	v_add_f32_e64 v3, |v2|, s12
	v_and_b32_e32 v3, 0xff, v3
	v_cmp_ne_u32_e32 vcc, 0, v3
	s_andn2_b64 s[8:9], s[8:9], exec
	s_and_b64 s[14:15], vcc, exec
	s_mov_b32 s12, 0
	s_or_b64 s[8:9], s[8:9], s[14:15]
	s_or_b64 exec, exec, s[10:11]
	v_mov_b32_e32 v6, s12
	s_and_saveexec_b64 s[10:11], s[8:9]
	s_cbranch_execnz .LBB7_694
	s_branch .LBB7_695
.LBB7_789:
	s_mov_b64 s[12:13], -1
.LBB7_790:
                                        ; implicit-def: $vgpr2_vgpr3
.LBB7_791:
	s_and_b64 vcc, exec, s[18:19]
	s_cbranch_vccz .LBB7_795
; %bb.792:
	v_cmp_eq_u16_e32 vcc, 44, v57
	s_cbranch_vccz .LBB7_794
; %bb.793:
	global_load_ubyte v4, v[0:1], off
	s_movk_i32 s16, 0xff
	v_bfrev_b32_e32 v5, 4
	v_mov_b32_e32 v6, 0x7ff80000
	v_bfrev_b32_e32 v7, 28
	s_mov_b64 s[12:13], 0
	s_waitcnt vmcnt(0)
	v_lshlrev_b32_e32 v2, 23, v4
	v_cvt_f64_f32_e32 v[2:3], v2
	v_cmp_ne_u32_e32 vcc, s16, v4
	v_cndmask_b32_e32 v2, v5, v2, vcc
	v_cndmask_b32_e32 v3, v6, v3, vcc
	v_cmp_ne_u32_e32 vcc, 0, v4
	v_cndmask_b32_e32 v3, v7, v3, vcc
	v_cndmask_b32_e32 v2, 0, v2, vcc
	s_mov_b64 s[16:17], -1
	s_branch .LBB7_795
.LBB7_794:
	s_mov_b64 s[12:13], -1
                                        ; implicit-def: $vgpr2_vgpr3
.LBB7_795:
	s_mov_b64 s[18:19], 0
.LBB7_796:
	s_and_b64 vcc, exec, s[18:19]
	s_cbranch_vccz .LBB7_800
; %bb.797:
	v_cmp_eq_u16_e32 vcc, 29, v57
	s_cbranch_vccz .LBB7_799
; %bb.798:
	global_load_dwordx2 v[2:3], v[0:1], off
	s_mov_b64 s[12:13], 0
	s_mov_b64 s[16:17], -1
	s_mov_b64 s[18:19], 0
	s_waitcnt vmcnt(0)
	v_cvt_f64_u32_e32 v[4:5], v3
	v_cvt_f64_u32_e32 v[2:3], v2
	v_ldexp_f64 v[4:5], v[4:5], 32
	v_add_f64 v[2:3], v[4:5], v[2:3]
	s_branch .LBB7_801
.LBB7_799:
	s_mov_b64 s[12:13], -1
                                        ; implicit-def: $vgpr2_vgpr3
.LBB7_800:
	s_mov_b64 s[18:19], 0
.LBB7_801:
	s_and_b64 vcc, exec, s[18:19]
	s_cbranch_vccz .LBB7_819
; %bb.802:
	v_cmp_gt_i16_e32 vcc, 27, v57
	s_cbranch_vccnz .LBB7_805
; %bb.803:
	v_cmp_lt_i16_e32 vcc, 27, v57
	s_cbranch_vccz .LBB7_806
; %bb.804:
	global_load_dword v2, v[0:1], off
	s_mov_b64 s[16:17], 0
	s_waitcnt vmcnt(0)
	v_cvt_f64_u32_e32 v[2:3], v2
	s_branch .LBB7_807
.LBB7_805:
	s_mov_b64 s[16:17], -1
                                        ; implicit-def: $vgpr2_vgpr3
	s_branch .LBB7_810
.LBB7_806:
	s_mov_b64 s[16:17], -1
                                        ; implicit-def: $vgpr2_vgpr3
.LBB7_807:
	s_andn2_b64 vcc, exec, s[16:17]
	s_cbranch_vccnz .LBB7_809
; %bb.808:
	global_load_ushort v2, v[0:1], off
	s_waitcnt vmcnt(0)
	v_cvt_f64_u32_e32 v[2:3], v2
.LBB7_809:
	s_mov_b64 s[16:17], 0
.LBB7_810:
	s_andn2_b64 vcc, exec, s[16:17]
	s_cbranch_vccnz .LBB7_818
; %bb.811:
	global_load_ubyte v4, v[0:1], off
	s_movk_i32 s16, 0x7f
                                        ; implicit-def: $sgpr18_sgpr19
	s_waitcnt vmcnt(0)
	v_cmp_lt_i16_e32 vcc, s16, v4
	s_mov_b64 s[16:17], 0
	s_and_saveexec_b64 s[20:21], vcc
	s_xor_b64 s[20:21], exec, s[20:21]
	s_cbranch_execz .LBB7_832
; %bb.812:
	s_movk_i32 s16, 0x80
	v_cmp_eq_u16_e32 vcc, s16, v4
	s_mov_b64 s[22:23], -1
                                        ; implicit-def: $sgpr18_sgpr19
	s_and_saveexec_b64 s[16:17], vcc
; %bb.813:
	s_mov_b32 s19, 0x7ff80000
	s_brev_b32 s18, 4
	s_xor_b64 s[22:23], exec, -1
; %bb.814:
	s_or_b64 exec, exec, s[16:17]
	s_and_b64 s[16:17], s[22:23], exec
	s_or_saveexec_b64 s[20:21], s[20:21]
	v_pk_mov_b32 v[2:3], s[18:19], s[18:19] op_sel:[0,1]
	s_xor_b64 exec, exec, s[20:21]
	s_cbranch_execnz .LBB7_833
.LBB7_815:
	s_or_b64 exec, exec, s[20:21]
	s_and_saveexec_b64 s[18:19], s[16:17]
	s_cbranch_execz .LBB7_817
.LBB7_816:
	v_and_b32_e32 v3, 0xffff, v4
	v_lshlrev_b32_e32 v2, 24, v4
	v_and_b32_e32 v4, 7, v3
	v_ffbh_u32_e32 v6, v4
	v_min_u32_e32 v6, 32, v6
	v_subrev_u32_e32 v7, 28, v6
	v_bfe_u32 v5, v3, 3, 4
	v_lshlrev_b32_e32 v3, v7, v3
	v_sub_u32_e32 v6, 29, v6
	v_and_b32_e32 v3, 7, v3
	v_cmp_eq_u32_e32 vcc, 0, v5
	v_cndmask_b32_e32 v5, v5, v6, vcc
	v_cndmask_b32_e32 v3, v4, v3, vcc
	v_mov_b32_e32 v4, 0x3b800000
	v_lshlrev_b32_e32 v3, 20, v3
	v_and_b32_e32 v2, 0x80000000, v2
	v_lshl_add_u32 v4, v5, 23, v4
	v_or3_b32 v2, v2, v4, v3
	v_cvt_f64_f32_e32 v[2:3], v2
.LBB7_817:
	s_or_b64 exec, exec, s[18:19]
.LBB7_818:
	s_mov_b64 s[16:17], -1
.LBB7_819:
	s_mov_b64 s[18:19], 0
.LBB7_820:
	s_and_b64 vcc, exec, s[18:19]
	s_cbranch_vccz .LBB7_853
; %bb.821:
	v_cmp_lt_i16_e32 vcc, 22, v57
	s_cbranch_vccz .LBB7_831
; %bb.822:
	v_cmp_gt_i16_e32 vcc, 24, v57
	s_cbranch_vccnz .LBB7_834
; %bb.823:
	v_cmp_lt_i16_e32 vcc, 24, v57
	s_cbranch_vccz .LBB7_835
; %bb.824:
	global_load_ubyte v4, v[0:1], off
	s_movk_i32 s14, 0x7f
                                        ; implicit-def: $sgpr16_sgpr17
	s_waitcnt vmcnt(0)
	v_cmp_lt_i16_e32 vcc, s14, v4
	s_mov_b64 s[14:15], 0
	s_and_saveexec_b64 s[18:19], vcc
	s_xor_b64 s[18:19], exec, s[18:19]
	s_cbranch_execz .LBB7_847
; %bb.825:
	s_movk_i32 s14, 0x80
	v_cmp_eq_u16_e32 vcc, s14, v4
	s_mov_b64 s[20:21], -1
                                        ; implicit-def: $sgpr16_sgpr17
	s_and_saveexec_b64 s[14:15], vcc
; %bb.826:
	s_mov_b32 s17, 0x7ff80000
	s_brev_b32 s16, 4
	s_xor_b64 s[20:21], exec, -1
; %bb.827:
	s_or_b64 exec, exec, s[14:15]
	s_and_b64 s[14:15], s[20:21], exec
	s_or_saveexec_b64 s[18:19], s[18:19]
	v_pk_mov_b32 v[2:3], s[16:17], s[16:17] op_sel:[0,1]
	s_xor_b64 exec, exec, s[18:19]
	s_cbranch_execnz .LBB7_848
.LBB7_828:
	s_or_b64 exec, exec, s[18:19]
	s_and_saveexec_b64 s[16:17], s[14:15]
	s_cbranch_execz .LBB7_830
.LBB7_829:
	v_and_b32_e32 v3, 0xffff, v4
	v_lshlrev_b32_e32 v2, 24, v4
	v_and_b32_e32 v4, 3, v3
	v_ffbh_u32_e32 v6, v4
	v_min_u32_e32 v6, 32, v6
	v_subrev_u32_e32 v7, 29, v6
	v_bfe_u32 v5, v3, 2, 5
	v_lshlrev_b32_e32 v3, v7, v3
	v_sub_u32_e32 v6, 30, v6
	v_and_b32_e32 v3, 3, v3
	v_cmp_eq_u32_e32 vcc, 0, v5
	v_cndmask_b32_e32 v5, v5, v6, vcc
	v_cndmask_b32_e32 v3, v4, v3, vcc
	v_mov_b32_e32 v4, 0x37800000
	v_lshlrev_b32_e32 v3, 21, v3
	v_and_b32_e32 v2, 0x80000000, v2
	v_lshl_add_u32 v4, v5, 23, v4
	v_or3_b32 v2, v2, v4, v3
	v_cvt_f64_f32_e32 v[2:3], v2
.LBB7_830:
	s_or_b64 exec, exec, s[16:17]
	s_mov_b64 s[14:15], 0
	s_branch .LBB7_836
.LBB7_831:
	s_mov_b64 s[14:15], -1
                                        ; implicit-def: $vgpr2_vgpr3
	s_branch .LBB7_842
.LBB7_832:
	s_or_saveexec_b64 s[20:21], s[20:21]
	v_pk_mov_b32 v[2:3], s[18:19], s[18:19] op_sel:[0,1]
	s_xor_b64 exec, exec, s[20:21]
	s_cbranch_execz .LBB7_815
.LBB7_833:
	v_cmp_ne_u16_e32 vcc, 0, v4
	s_andn2_b64 s[16:17], s[16:17], exec
	s_and_b64 s[18:19], vcc, exec
	v_pk_mov_b32 v[2:3], 0, 0
	s_or_b64 s[16:17], s[16:17], s[18:19]
	s_or_b64 exec, exec, s[20:21]
	s_and_saveexec_b64 s[18:19], s[16:17]
	s_cbranch_execnz .LBB7_816
	s_branch .LBB7_817
.LBB7_834:
	s_mov_b64 s[14:15], -1
                                        ; implicit-def: $vgpr2_vgpr3
	s_branch .LBB7_839
.LBB7_835:
	s_mov_b64 s[14:15], -1
                                        ; implicit-def: $vgpr2_vgpr3
.LBB7_836:
	s_and_b64 vcc, exec, s[14:15]
	s_cbranch_vccz .LBB7_838
; %bb.837:
	global_load_ubyte v2, v[0:1], off
	s_mov_b32 s14, 0x7f800000
	s_waitcnt vmcnt(0)
	v_lshlrev_b32_e32 v2, 24, v2
	v_and_b32_e32 v3, 0x7f000000, v2
	v_ffbh_u32_e32 v4, v3
	v_min_u32_e32 v4, 32, v4
	v_sub_u32_e64 v4, v4, 4 clamp
	v_lshlrev_b32_e32 v6, v4, v3
	v_lshlrev_b32_e32 v4, 23, v4
	v_lshrrev_b32_e32 v6, 4, v6
	v_add_u32_e32 v5, 0x1000000, v3
	v_sub_u32_e32 v4, v6, v4
	v_ashrrev_i32_e32 v5, 8, v5
	v_add_u32_e32 v4, 0x3c000000, v4
	v_and_or_b32 v4, v5, s14, v4
	v_cmp_ne_u32_e32 vcc, 0, v3
	v_cndmask_b32_e32 v3, 0, v4, vcc
	s_brev_b32 s14, 1
	v_and_or_b32 v2, v2, s14, v3
	v_cvt_f64_f32_e32 v[2:3], v2
.LBB7_838:
	s_mov_b64 s[14:15], 0
.LBB7_839:
	s_andn2_b64 vcc, exec, s[14:15]
	s_cbranch_vccnz .LBB7_841
; %bb.840:
	global_load_ubyte v2, v[0:1], off
	s_movk_i32 s14, 0x7f00
	s_brev_b32 s15, 16
	s_waitcnt vmcnt(0)
	v_lshlrev_b16_e32 v3, 8, v2
	v_lshlrev_b32_e32 v2, 25, v2
	v_lshrrev_b32_e32 v4, 4, v2
	v_and_or_b32 v5, v3, s14, 0.5
	v_or_b32_e32 v4, 0x70000000, v4
	v_add_f32_e32 v5, -0.5, v5
	v_mul_f32_e32 v4, 0x7800000, v4
	v_cmp_gt_u32_e32 vcc, s15, v2
	v_bfe_i32 v3, v3, 0, 16
	v_cndmask_b32_e32 v2, v4, v5, vcc
	s_brev_b32 s14, 1
	v_and_or_b32 v2, v3, s14, v2
	v_cvt_f64_f32_e32 v[2:3], v2
.LBB7_841:
	s_mov_b64 s[14:15], 0
	s_mov_b64 s[16:17], -1
.LBB7_842:
	s_andn2_b64 vcc, exec, s[14:15]
	s_mov_b64 s[14:15], 0
	s_cbranch_vccnz .LBB7_853
; %bb.843:
	v_cmp_lt_i16_e32 vcc, 14, v57
	s_cbranch_vccz .LBB7_846
; %bb.844:
	v_cmp_eq_u16_e32 vcc, 15, v57
	s_cbranch_vccz .LBB7_849
; %bb.845:
	global_load_ushort v2, v[0:1], off
	s_mov_b64 s[12:13], 0
	s_mov_b64 s[16:17], -1
	s_waitcnt vmcnt(0)
	v_lshlrev_b32_e32 v2, 16, v2
	v_cvt_f64_f32_e32 v[2:3], v2
	s_branch .LBB7_850
.LBB7_846:
	s_mov_b64 s[18:19], -1
                                        ; implicit-def: $vgpr2_vgpr3
	s_branch .LBB7_851
.LBB7_847:
	s_or_saveexec_b64 s[18:19], s[18:19]
	v_pk_mov_b32 v[2:3], s[16:17], s[16:17] op_sel:[0,1]
	s_xor_b64 exec, exec, s[18:19]
	s_cbranch_execz .LBB7_828
.LBB7_848:
	v_cmp_ne_u16_e32 vcc, 0, v4
	s_andn2_b64 s[14:15], s[14:15], exec
	s_and_b64 s[16:17], vcc, exec
	v_pk_mov_b32 v[2:3], 0, 0
	s_or_b64 s[14:15], s[14:15], s[16:17]
	s_or_b64 exec, exec, s[18:19]
	s_and_saveexec_b64 s[16:17], s[14:15]
	s_cbranch_execnz .LBB7_829
	s_branch .LBB7_830
.LBB7_849:
	s_mov_b64 s[12:13], -1
                                        ; implicit-def: $vgpr2_vgpr3
.LBB7_850:
	s_mov_b64 s[18:19], 0
.LBB7_851:
	s_and_b64 vcc, exec, s[18:19]
	s_cbranch_vccz .LBB7_853
; %bb.852:
	v_cmp_ne_u16_e32 vcc, 11, v57
	s_andn2_b64 s[12:13], s[12:13], exec
	s_and_b64 s[18:19], vcc, exec
	s_mov_b64 s[14:15], -1
	s_or_b64 s[12:13], s[12:13], s[18:19]
                                        ; implicit-def: $vgpr2_vgpr3
.LBB7_853:
	s_mov_b64 s[18:19], 0
.LBB7_854:
	s_and_b64 s[20:21], s[16:17], exec
	s_and_b64 s[16:17], s[18:19], exec
	s_andn2_b64 s[18:19], s[4:5], exec
	s_and_b64 s[12:13], s[12:13], exec
	s_and_b64 s[14:15], s[14:15], exec
	s_or_b64 s[18:19], s[18:19], s[12:13]
.LBB7_855:
	s_or_b64 exec, exec, s[10:11]
	s_and_b64 s[12:13], s[14:15], exec
	s_andn2_b64 s[4:5], s[4:5], exec
	s_and_b64 s[14:15], s[18:19], exec
	s_and_b64 s[10:11], s[20:21], exec
	;; [unrolled: 1-line block ×3, first 2 shown]
	s_or_b64 s[4:5], s[4:5], s[14:15]
.LBB7_856:
	s_or_b64 exec, exec, s[8:9]
	s_andn2_b64 s[8:9], s[54:55], exec
	s_and_b64 s[6:7], s[6:7], exec
	s_or_b64 s[54:55], s[8:9], s[6:7]
	s_and_b64 s[6:7], s[12:13], exec
	s_andn2_b64 s[12:13], s[52:53], exec
	s_and_b64 s[4:5], s[4:5], exec
	s_and_b64 s[10:11], s[10:11], exec
	;; [unrolled: 1-line block ×3, first 2 shown]
	s_or_b64 s[52:53], s[12:13], s[4:5]
.LBB7_857:
	s_or_b64 exec, exec, s[56:57]
	s_andn2_b64 s[4:5], s[46:47], exec
	s_and_b64 s[12:13], s[54:55], exec
	s_or_b64 s[46:47], s[4:5], s[12:13]
	s_and_b64 s[4:5], s[10:11], exec
	s_and_b64 s[54:55], s[6:7], exec
	s_andn2_b64 s[6:7], s[48:49], exec
	s_and_b64 s[10:11], s[52:53], exec
	s_and_b64 s[8:9], s[8:9], exec
	s_or_b64 s[48:49], s[6:7], s[10:11]
	s_or_b64 exec, exec, s[50:51]
	s_mov_b64 s[50:51], 0
	s_and_saveexec_b64 s[6:7], s[48:49]
	s_cbranch_execz .LBB7_261
.LBB7_858:
	s_mov_b64 s[50:51], exec
	s_andn2_b64 s[54:55], s[54:55], exec
	s_trap 2
                                        ; implicit-def: $vgpr2_vgpr3
	s_or_b64 exec, exec, s[6:7]
	s_and_saveexec_b64 s[6:7], s[54:55]
	s_xor_b64 s[6:7], exec, s[6:7]
	s_cbranch_execnz .LBB7_262
.LBB7_859:
	s_or_b64 exec, exec, s[6:7]
	s_and_saveexec_b64 s[6:7], s[8:9]
	s_cbranch_execz .LBB7_905
.LBB7_860:
	v_cmp_gt_i16_e32 vcc, 5, v57
	s_cbranch_vccnz .LBB7_865
; %bb.861:
	v_cmp_gt_i16_e32 vcc, 8, v57
	s_cbranch_vccnz .LBB7_866
; %bb.862:
	;; [unrolled: 3-line block ×3, first 2 shown]
	v_cmp_lt_i16_e32 vcc, 9, v57
	s_cbranch_vccz .LBB7_868
; %bb.864:
	s_waitcnt vmcnt(0)
	global_load_dwordx2 v[2:3], v[0:1], off
	s_mov_b64 s[8:9], 0
	s_branch .LBB7_869
.LBB7_865:
                                        ; implicit-def: $vgpr2_vgpr3
	s_branch .LBB7_886
.LBB7_866:
                                        ; implicit-def: $vgpr2_vgpr3
	s_branch .LBB7_875
.LBB7_867:
	s_mov_b64 s[8:9], -1
                                        ; implicit-def: $vgpr2_vgpr3
	s_branch .LBB7_872
.LBB7_868:
	s_mov_b64 s[8:9], -1
                                        ; implicit-def: $vgpr2_vgpr3
.LBB7_869:
	s_andn2_b64 vcc, exec, s[8:9]
	s_cbranch_vccnz .LBB7_871
; %bb.870:
	s_waitcnt vmcnt(0)
	global_load_dword v2, v[0:1], off
	s_waitcnt vmcnt(0)
	v_cvt_f64_f32_e32 v[2:3], v2
.LBB7_871:
	s_mov_b64 s[8:9], 0
.LBB7_872:
	s_andn2_b64 vcc, exec, s[8:9]
	s_cbranch_vccnz .LBB7_874
; %bb.873:
	s_waitcnt vmcnt(0)
	global_load_dword v2, v[0:1], off
	s_waitcnt vmcnt(0)
	v_cvt_f32_f16_e32 v2, v2
	v_cvt_f64_f32_e32 v[2:3], v2
.LBB7_874:
	s_cbranch_execnz .LBB7_885
.LBB7_875:
	v_cmp_gt_i16_e32 vcc, 6, v57
	s_cbranch_vccnz .LBB7_878
; %bb.876:
	v_cmp_lt_i16_e32 vcc, 6, v57
	s_cbranch_vccz .LBB7_879
; %bb.877:
	s_waitcnt vmcnt(0)
	global_load_dwordx2 v[2:3], v[0:1], off
	s_mov_b64 s[8:9], 0
	s_branch .LBB7_880
.LBB7_878:
	s_mov_b64 s[8:9], -1
                                        ; implicit-def: $vgpr2_vgpr3
	s_branch .LBB7_883
.LBB7_879:
	s_mov_b64 s[8:9], -1
                                        ; implicit-def: $vgpr2_vgpr3
.LBB7_880:
	s_andn2_b64 vcc, exec, s[8:9]
	s_cbranch_vccnz .LBB7_882
; %bb.881:
	s_waitcnt vmcnt(0)
	global_load_dword v2, v[0:1], off
	s_waitcnt vmcnt(0)
	v_cvt_f64_f32_e32 v[2:3], v2
.LBB7_882:
	s_mov_b64 s[8:9], 0
.LBB7_883:
	s_andn2_b64 vcc, exec, s[8:9]
	s_cbranch_vccnz .LBB7_885
; %bb.884:
	s_waitcnt vmcnt(0)
	global_load_ushort v2, v[0:1], off
	s_waitcnt vmcnt(0)
	v_cvt_f32_f16_e32 v2, v2
	v_cvt_f64_f32_e32 v[2:3], v2
.LBB7_885:
	s_cbranch_execnz .LBB7_904
.LBB7_886:
	v_cmp_gt_i16_e32 vcc, 2, v57
	s_cbranch_vccnz .LBB7_890
; %bb.887:
	v_cmp_gt_i16_e32 vcc, 3, v57
	s_cbranch_vccnz .LBB7_891
; %bb.888:
	v_cmp_lt_i16_e32 vcc, 3, v57
	s_cbranch_vccz .LBB7_892
; %bb.889:
	s_waitcnt vmcnt(0)
	global_load_dwordx2 v[2:3], v[0:1], off
	s_mov_b64 s[8:9], 0
	s_waitcnt vmcnt(0)
	v_cvt_f64_i32_e32 v[4:5], v3
	v_cvt_f64_u32_e32 v[2:3], v2
	v_ldexp_f64 v[4:5], v[4:5], 32
	v_add_f64 v[2:3], v[4:5], v[2:3]
	s_branch .LBB7_893
.LBB7_890:
                                        ; implicit-def: $vgpr2_vgpr3
	s_branch .LBB7_899
.LBB7_891:
	s_mov_b64 s[8:9], -1
                                        ; implicit-def: $vgpr2_vgpr3
	s_branch .LBB7_896
.LBB7_892:
	s_mov_b64 s[8:9], -1
                                        ; implicit-def: $vgpr2_vgpr3
.LBB7_893:
	s_andn2_b64 vcc, exec, s[8:9]
	s_cbranch_vccnz .LBB7_895
; %bb.894:
	s_waitcnt vmcnt(0)
	global_load_dword v2, v[0:1], off
	s_waitcnt vmcnt(0)
	v_cvt_f64_i32_e32 v[2:3], v2
.LBB7_895:
	s_mov_b64 s[8:9], 0
.LBB7_896:
	s_andn2_b64 vcc, exec, s[8:9]
	s_cbranch_vccnz .LBB7_898
; %bb.897:
	s_waitcnt vmcnt(0)
	global_load_sshort v2, v[0:1], off
	s_waitcnt vmcnt(0)
	v_cvt_f64_i32_e32 v[2:3], v2
.LBB7_898:
	s_cbranch_execnz .LBB7_904
.LBB7_899:
	v_cmp_lt_i16_e32 vcc, 0, v57
	s_cbranch_vccz .LBB7_901
; %bb.900:
	s_waitcnt vmcnt(0)
	global_load_sbyte v2, v[0:1], off
	s_mov_b64 s[8:9], 0
	s_waitcnt vmcnt(0)
	v_cvt_f64_i32_e32 v[2:3], v2
	s_branch .LBB7_902
.LBB7_901:
	s_mov_b64 s[8:9], -1
                                        ; implicit-def: $vgpr2_vgpr3
.LBB7_902:
	s_andn2_b64 vcc, exec, s[8:9]
	s_cbranch_vccnz .LBB7_904
; %bb.903:
	s_waitcnt vmcnt(0)
	global_load_ubyte v0, v[0:1], off
	s_waitcnt vmcnt(0)
	v_cvt_f64_u32_e32 v[2:3], v0
.LBB7_904:
	s_or_b64 s[4:5], s[4:5], exec
.LBB7_905:
	s_or_b64 exec, exec, s[6:7]
	s_mov_b64 s[8:9], 0
	s_mov_b64 s[6:7], 0
                                        ; implicit-def: $vgpr6
                                        ; implicit-def: $vgpr4_vgpr5
                                        ; implicit-def: $vgpr0_vgpr1
	s_and_saveexec_b64 s[48:49], s[4:5]
	s_cbranch_execz .LBB7_980
; %bb.906:
	s_waitcnt vmcnt(0)
	v_mov_b32_e32 v0, v2
	v_mov_b32_e32 v1, v3
	s_getpc_b64 s[4:5]
	s_add_u32 s4, s4, _Z17bessel_j1_forwardIdET_S0_@rel32@lo+4
	s_addc_u32 s5, s5, _Z17bessel_j1_forwardIdET_S0_@rel32@hi+12
	s_swappc_b64 s[30:31], s[4:5]
	v_mul_lo_u32 v2, v56, s40
	v_ashrrev_i32_e32 v3, 31, v2
	v_mov_b32_e32 v5, s37
	v_add_co_u32_e32 v4, vcc, s36, v2
	v_addc_co_u32_e32 v5, vcc, v5, v3, vcc
	v_and_b32_e32 v6, 0xff, v41
	v_cmp_gt_i16_e32 vcc, 11, v6
	s_cbranch_vccnz .LBB7_983
; %bb.907:
	v_cmp_lt_i16_e32 vcc, 25, v6
	s_mov_b64 s[8:9], -1
	s_mov_b64 s[4:5], s[46:47]
	s_cbranch_vccz .LBB7_940
; %bb.908:
	v_cmp_lt_i16_e32 vcc, 28, v6
	s_mov_b64 s[6:7], -1
	s_mov_b64 s[4:5], s[46:47]
	s_cbranch_vccz .LBB7_924
; %bb.909:
	v_cmp_lt_i16_e32 vcc, 43, v6
	s_mov_b64 s[4:5], s[46:47]
	s_cbranch_vccz .LBB7_920
; %bb.910:
	v_cmp_lt_i16_e32 vcc, 45, v6
	s_mov_b64 s[4:5], s[46:47]
	s_cbranch_vccz .LBB7_914
; %bb.911:
	v_cmp_eq_u16_e32 vcc, 46, v6
	s_mov_b64 s[4:5], -1
	s_cbranch_vccz .LBB7_913
; %bb.912:
	v_cvt_f32_f64_e32 v2, v[0:1]
	v_bfe_u32 v3, v2, 16, 1
	s_movk_i32 s4, 0x7fff
	v_add3_u32 v3, v2, v3, s4
	v_lshrrev_b32_e32 v3, 16, v3
	v_mov_b32_e32 v7, 0x7fc0
	v_cmp_o_f32_e32 vcc, v2, v2
	v_cndmask_b32_e32 v2, v7, v3, vcc
	global_store_dword v[4:5], v2, off
	s_mov_b64 s[4:5], 0
.LBB7_913:
	s_mov_b64 s[6:7], 0
.LBB7_914:
	s_and_b64 vcc, exec, s[6:7]
	s_cbranch_vccz .LBB7_919
; %bb.915:
	v_cmp_eq_u16_e32 vcc, 44, v6
	s_mov_b64 s[4:5], -1
	s_cbranch_vccz .LBB7_919
; %bb.916:
	v_cvt_f32_f64_e32 v2, v[0:1]
	v_bfe_u32 v3, v2, 23, 8
	s_movk_i32 s4, 0xff
	v_cmp_ne_u32_e32 vcc, s4, v3
	v_mov_b32_e32 v7, 0xff
	s_and_saveexec_b64 s[6:7], vcc
; %bb.917:
	s_mov_b32 s4, 0x3fffff
	v_lshrrev_b32_e32 v7, 23, v2
	v_and_b32_e32 v8, 0x400000, v2
	v_and_or_b32 v2, v2, s4, v3
	v_cmp_ne_u32_e32 vcc, 0, v8
	v_cmp_ne_u32_e64 s[4:5], 0, v2
	s_and_b64 s[4:5], vcc, s[4:5]
	v_cndmask_b32_e64 v2, 0, 1, s[4:5]
	v_add_u32_e32 v7, v7, v2
; %bb.918:
	s_or_b64 exec, exec, s[6:7]
	s_mov_b64 s[4:5], 0
	global_store_byte v[4:5], v7, off
.LBB7_919:
	s_mov_b64 s[6:7], 0
.LBB7_920:
	s_and_b64 vcc, exec, s[6:7]
	s_cbranch_vccz .LBB7_923
; %bb.921:
	v_cmp_eq_u16_e32 vcc, 29, v6
	s_mov_b64 s[4:5], -1
	s_cbranch_vccz .LBB7_923
; %bb.922:
	v_trunc_f64_e32 v[2:3], v[0:1]
	s_movk_i32 s4, 0xffe0
	v_ldexp_f64 v[8:9], v[2:3], s4
	v_floor_f64_e32 v[8:9], v[8:9]
	v_fmac_f64_e32 v[2:3], 0xc1f00000, v[8:9]
	v_cvt_u32_f64_e32 v11, v[8:9]
	v_cvt_u32_f64_e32 v10, v[2:3]
	global_store_dwordx2 v[4:5], v[10:11], off
	s_mov_b64 s[4:5], 0
.LBB7_923:
	s_mov_b64 s[6:7], 0
.LBB7_924:
	s_and_b64 vcc, exec, s[6:7]
	s_cbranch_vccz .LBB7_939
; %bb.925:
	v_cmp_gt_i16_e32 vcc, 27, v6
	s_mov_b64 s[6:7], -1
	s_cbranch_vccnz .LBB7_931
; %bb.926:
	v_cmp_lt_i16_e32 vcc, 27, v6
	v_cvt_u32_f64_e32 v2, v[0:1]
	s_cbranch_vccz .LBB7_928
; %bb.927:
	s_mov_b64 s[6:7], 0
	global_store_dword v[4:5], v2, off
.LBB7_928:
	s_andn2_b64 vcc, exec, s[6:7]
	s_cbranch_vccnz .LBB7_930
; %bb.929:
	global_store_short v[4:5], v2, off
.LBB7_930:
	s_mov_b64 s[6:7], 0
.LBB7_931:
	s_andn2_b64 vcc, exec, s[6:7]
	s_cbranch_vccnz .LBB7_939
; %bb.932:
	v_cvt_f32_f64_e32 v2, v[0:1]
	v_and_b32_e32 v3, 0x7fffffff, v2
	s_mov_b32 s6, 0x43800000
	v_cmp_gt_u32_e32 vcc, s6, v3
	v_mov_b32_e32 v7, 0x80
	s_and_saveexec_b64 s[6:7], vcc
	s_cbranch_execz .LBB7_938
; %bb.933:
	s_mov_b32 s8, 0x3bffffff
	v_cmp_lt_u32_e32 vcc, s8, v3
	s_mov_b64 s[8:9], 0
                                        ; implicit-def: $vgpr3
	s_and_saveexec_b64 s[10:11], vcc
	s_xor_b64 s[10:11], exec, s[10:11]
	s_cbranch_execz .LBB7_1040
; %bb.934:
	v_bfe_u32 v3, v2, 20, 1
	s_mov_b32 s12, 0x487ffff
	v_add3_u32 v3, v2, v3, s12
	s_mov_b64 s[8:9], exec
	v_lshrrev_b32_e32 v3, 20, v3
	s_or_saveexec_b64 s[10:11], s[10:11]
                                        ; implicit-def: $sgpr12
	s_xor_b64 exec, exec, s[10:11]
	s_cbranch_execnz .LBB7_1041
.LBB7_935:
	s_or_b64 exec, exec, s[10:11]
	v_mov_b32_e32 v7, s12
	s_and_saveexec_b64 s[10:11], s[8:9]
.LBB7_936:
	v_lshrrev_b32_e32 v2, 24, v2
	s_movk_i32 s8, 0x80
	v_and_or_b32 v7, v2, s8, v3
.LBB7_937:
	s_or_b64 exec, exec, s[10:11]
.LBB7_938:
	s_or_b64 exec, exec, s[6:7]
	global_store_byte v[4:5], v7, off
.LBB7_939:
	s_mov_b64 s[8:9], 0
.LBB7_940:
	s_mov_b64 s[6:7], 0
	s_and_b64 vcc, exec, s[8:9]
	s_cbranch_vccz .LBB7_984
; %bb.941:
	v_cmp_lt_i16_e32 vcc, 22, v6
	s_mov_b64 s[8:9], -1
	s_cbranch_vccz .LBB7_973
; %bb.942:
	v_cmp_gt_i16_e32 vcc, 24, v6
	s_cbranch_vccnz .LBB7_962
; %bb.943:
	v_cmp_lt_i16_e32 vcc, 24, v6
	s_cbranch_vccz .LBB7_951
; %bb.944:
	v_cvt_f32_f64_e32 v2, v[0:1]
	v_and_b32_e32 v3, 0x7fffffff, v2
	s_mov_b32 s8, 0x47800000
	v_cmp_gt_u32_e32 vcc, s8, v3
	v_mov_b32_e32 v7, 0x80
	s_and_saveexec_b64 s[8:9], vcc
	s_cbranch_execz .LBB7_950
; %bb.945:
	s_mov_b32 s10, 0x37ffffff
	v_cmp_lt_u32_e32 vcc, s10, v3
	s_mov_b64 s[10:11], 0
                                        ; implicit-def: $vgpr3
	s_and_saveexec_b64 s[12:13], vcc
	s_xor_b64 s[12:13], exec, s[12:13]
	s_cbranch_execz .LBB7_1165
; %bb.946:
	v_bfe_u32 v3, v2, 21, 1
	s_mov_b32 s14, 0x88fffff
	v_add3_u32 v3, v2, v3, s14
	s_mov_b64 s[10:11], exec
	v_lshrrev_b32_e32 v3, 21, v3
	s_or_saveexec_b64 s[12:13], s[12:13]
                                        ; implicit-def: $sgpr14
	s_xor_b64 exec, exec, s[12:13]
	s_cbranch_execnz .LBB7_1166
.LBB7_947:
	s_or_b64 exec, exec, s[12:13]
	v_mov_b32_e32 v7, s14
	s_and_saveexec_b64 s[12:13], s[10:11]
.LBB7_948:
	v_lshrrev_b32_e32 v2, 24, v2
	s_movk_i32 s10, 0x80
	v_and_or_b32 v7, v2, s10, v3
.LBB7_949:
	s_or_b64 exec, exec, s[12:13]
.LBB7_950:
	s_or_b64 exec, exec, s[8:9]
	s_mov_b64 s[8:9], 0
	global_store_byte v[4:5], v7, off
.LBB7_951:
	s_and_b64 vcc, exec, s[8:9]
	s_cbranch_vccz .LBB7_961
; %bb.952:
	v_cvt_f32_f64_e32 v2, v[0:1]
	v_and_b32_e32 v7, 0x7fffffff, v2
	s_mov_b32 s8, 0x43f00000
	v_cmp_gt_u32_e32 vcc, s8, v7
                                        ; implicit-def: $vgpr3
	s_and_saveexec_b64 s[8:9], vcc
	s_xor_b64 s[8:9], exec, s[8:9]
	s_cbranch_execz .LBB7_958
; %bb.953:
	s_mov_b32 s10, 0x3c7fffff
	v_cmp_lt_u32_e32 vcc, s10, v7
                                        ; implicit-def: $vgpr3
	s_and_saveexec_b64 s[10:11], vcc
	s_xor_b64 s[10:11], exec, s[10:11]
; %bb.954:
	v_bfe_u32 v3, v2, 20, 1
	s_mov_b32 s12, 0x407ffff
	v_add3_u32 v3, v2, v3, s12
	v_lshrrev_b32_e32 v7, 20, v3
	v_and_b32_e32 v3, 0xff00000, v3
	s_mov_b32 s12, 0x7f00000
	v_mov_b32_e32 v8, 0x7e
	v_cmp_ne_u32_e32 vcc, s12, v3
	v_cndmask_b32_e32 v3, v8, v7, vcc
; %bb.955:
	s_andn2_saveexec_b64 s[10:11], s[10:11]
; %bb.956:
	s_mov_b32 s12, 0x46800000
	v_add_f32_e64 v3, |v2|, s12
; %bb.957:
	s_or_b64 exec, exec, s[10:11]
                                        ; implicit-def: $vgpr7
.LBB7_958:
	s_andn2_saveexec_b64 s[8:9], s[8:9]
; %bb.959:
	s_mov_b32 s10, 0x7f800000
	v_mov_b32_e32 v3, 0x7e
	v_mov_b32_e32 v8, 0x7f
	v_cmp_lt_u32_e32 vcc, s10, v7
	v_cndmask_b32_e32 v3, v3, v8, vcc
; %bb.960:
	s_or_b64 exec, exec, s[8:9]
	v_lshrrev_b32_e32 v2, 24, v2
	s_movk_i32 s8, 0x80
	v_and_or_b32 v2, v2, s8, v3
	global_store_byte v[4:5], v2, off
.LBB7_961:
	s_mov_b64 s[8:9], 0
.LBB7_962:
	s_andn2_b64 vcc, exec, s[8:9]
	s_cbranch_vccnz .LBB7_972
; %bb.963:
	v_cvt_f32_f64_e32 v2, v[0:1]
	v_and_b32_e32 v7, 0x7fffffff, v2
	s_mov_b32 s8, 0x47800000
	v_cmp_gt_u32_e32 vcc, s8, v7
                                        ; implicit-def: $vgpr3
	s_and_saveexec_b64 s[8:9], vcc
	s_xor_b64 s[8:9], exec, s[8:9]
	s_cbranch_execz .LBB7_969
; %bb.964:
	s_mov_b32 s10, 0x387fffff
	v_cmp_lt_u32_e32 vcc, s10, v7
                                        ; implicit-def: $vgpr3
	s_and_saveexec_b64 s[10:11], vcc
	s_xor_b64 s[10:11], exec, s[10:11]
; %bb.965:
	v_bfe_u32 v3, v2, 21, 1
	s_mov_b32 s12, 0x80fffff
	v_add3_u32 v3, v2, v3, s12
	v_lshrrev_b32_e32 v3, 21, v3
; %bb.966:
	s_andn2_saveexec_b64 s[10:11], s[10:11]
; %bb.967:
	s_mov_b32 s12, 0x43000000
	v_add_f32_e64 v3, |v2|, s12
; %bb.968:
	s_or_b64 exec, exec, s[10:11]
                                        ; implicit-def: $vgpr7
.LBB7_969:
	s_andn2_saveexec_b64 s[8:9], s[8:9]
; %bb.970:
	s_mov_b32 s10, 0x7f800000
	v_mov_b32_e32 v3, 0x7c
	v_mov_b32_e32 v8, 0x7f
	v_cmp_lt_u32_e32 vcc, s10, v7
	v_cndmask_b32_e32 v3, v3, v8, vcc
; %bb.971:
	s_or_b64 exec, exec, s[8:9]
	v_lshrrev_b32_e32 v2, 24, v2
	s_movk_i32 s8, 0x80
	v_and_or_b32 v2, v2, s8, v3
	global_store_byte v[4:5], v2, off
.LBB7_972:
	s_mov_b64 s[8:9], 0
.LBB7_973:
	s_andn2_b64 vcc, exec, s[8:9]
	s_mov_b64 s[8:9], 0
	s_cbranch_vccnz .LBB7_985
; %bb.974:
	v_cmp_lt_i16_e32 vcc, 14, v6
	s_mov_b64 s[10:11], -1
	s_cbranch_vccz .LBB7_978
; %bb.975:
	v_cmp_eq_u16_e32 vcc, 15, v6
	s_mov_b64 s[4:5], -1
	s_cbranch_vccz .LBB7_977
; %bb.976:
	v_cvt_f32_f64_e32 v2, v[0:1]
	v_bfe_u32 v3, v2, 16, 1
	s_movk_i32 s4, 0x7fff
	v_add3_u32 v3, v2, v3, s4
	v_lshrrev_b32_e32 v3, 16, v3
	v_mov_b32_e32 v7, 0x7fc0
	v_cmp_o_f32_e32 vcc, v2, v2
	v_cndmask_b32_e32 v2, v7, v3, vcc
	global_store_short v[4:5], v2, off
	s_mov_b64 s[4:5], 0
.LBB7_977:
	s_mov_b64 s[10:11], 0
.LBB7_978:
	s_and_b64 vcc, exec, s[10:11]
	s_cbranch_vccz .LBB7_985
; %bb.979:
	v_cmp_ne_u16_e32 vcc, 11, v6
	s_andn2_b64 s[4:5], s[4:5], exec
	s_and_b64 s[10:11], vcc, exec
	s_mov_b64 s[8:9], -1
	s_or_b64 s[4:5], s[4:5], s[10:11]
	s_branch .LBB7_985
.LBB7_980:
	s_or_b64 exec, exec, s[48:49]
	s_and_saveexec_b64 s[4:5], s[46:47]
	s_cbranch_execnz .LBB7_986
.LBB7_981:
	s_or_b64 exec, exec, s[4:5]
	s_and_saveexec_b64 s[4:5], s[8:9]
	s_xor_b64 s[4:5], exec, s[4:5]
	s_cbranch_execz .LBB7_987
.LBB7_982:
	s_waitcnt vmcnt(0)
	v_cmp_neq_f64_e32 vcc, 0, v[0:1]
	v_cndmask_b32_e64 v2, 0, 1, vcc
	global_store_byte v[4:5], v2, off
	s_or_b64 exec, exec, s[4:5]
	s_and_saveexec_b64 s[4:5], s[6:7]
	s_xor_b64 s[4:5], exec, s[4:5]
	s_cbranch_execz .LBB7_1025
	s_branch .LBB7_988
.LBB7_983:
	s_mov_b64 s[8:9], 0
	s_mov_b64 s[6:7], -1
	s_mov_b64 s[4:5], s[46:47]
	s_branch .LBB7_985
.LBB7_984:
	s_mov_b64 s[8:9], 0
.LBB7_985:
	s_andn2_b64 s[10:11], s[46:47], exec
	s_and_b64 s[4:5], s[4:5], exec
	s_and_b64 s[6:7], s[6:7], exec
	;; [unrolled: 1-line block ×3, first 2 shown]
	s_or_b64 s[46:47], s[10:11], s[4:5]
	s_or_b64 exec, exec, s[48:49]
	s_and_saveexec_b64 s[4:5], s[46:47]
	s_cbranch_execz .LBB7_981
.LBB7_986:
	s_or_b64 s[50:51], s[50:51], exec
	s_andn2_b64 s[8:9], s[8:9], exec
	s_trap 2
	s_or_b64 exec, exec, s[4:5]
	s_and_saveexec_b64 s[4:5], s[8:9]
	s_xor_b64 s[4:5], exec, s[4:5]
	s_cbranch_execnz .LBB7_982
.LBB7_987:
	s_or_b64 exec, exec, s[4:5]
	s_and_saveexec_b64 s[4:5], s[6:7]
	s_xor_b64 s[4:5], exec, s[4:5]
	s_cbranch_execz .LBB7_1025
.LBB7_988:
	v_cmp_gt_i16_e32 vcc, 5, v6
	s_mov_b64 s[6:7], -1
	s_cbranch_vccnz .LBB7_1009
; %bb.989:
	v_cmp_gt_i16_e32 vcc, 8, v6
	s_cbranch_vccnz .LBB7_999
; %bb.990:
	v_cmp_gt_i16_e32 vcc, 9, v6
	s_cbranch_vccnz .LBB7_996
; %bb.991:
	v_cmp_lt_i16_e32 vcc, 9, v6
	s_cbranch_vccz .LBB7_993
; %bb.992:
	s_waitcnt vmcnt(0)
	v_mov_b32_e32 v2, 0
	v_mov_b32_e32 v3, v2
	s_mov_b64 s[6:7], 0
	global_store_dwordx4 v[4:5], v[0:3], off
.LBB7_993:
	s_andn2_b64 vcc, exec, s[6:7]
	s_cbranch_vccnz .LBB7_995
; %bb.994:
	s_waitcnt vmcnt(0)
	v_cvt_f32_f64_e32 v2, v[0:1]
	v_mov_b32_e32 v3, 0
	global_store_dwordx2 v[4:5], v[2:3], off
.LBB7_995:
	s_mov_b64 s[6:7], 0
.LBB7_996:
	s_andn2_b64 vcc, exec, s[6:7]
	s_cbranch_vccnz .LBB7_998
; %bb.997:
	s_waitcnt vmcnt(0)
	v_cvt_f32_f64_e32 v2, v[0:1]
	v_cvt_f16_f32_e32 v2, v2
	global_store_dword v[4:5], v2, off
.LBB7_998:
	s_mov_b64 s[6:7], 0
.LBB7_999:
	s_andn2_b64 vcc, exec, s[6:7]
	s_cbranch_vccnz .LBB7_1008
; %bb.1000:
	v_cmp_gt_i16_e32 vcc, 6, v6
	s_mov_b64 s[6:7], -1
	s_cbranch_vccnz .LBB7_1006
; %bb.1001:
	v_cmp_lt_i16_e32 vcc, 6, v6
	s_cbranch_vccz .LBB7_1003
; %bb.1002:
	s_mov_b64 s[6:7], 0
	s_waitcnt vmcnt(0)
	global_store_dwordx2 v[4:5], v[0:1], off
.LBB7_1003:
	s_andn2_b64 vcc, exec, s[6:7]
	s_cbranch_vccnz .LBB7_1005
; %bb.1004:
	s_waitcnt vmcnt(0)
	v_cvt_f32_f64_e32 v2, v[0:1]
	global_store_dword v[4:5], v2, off
.LBB7_1005:
	s_mov_b64 s[6:7], 0
.LBB7_1006:
	s_andn2_b64 vcc, exec, s[6:7]
	s_cbranch_vccnz .LBB7_1008
; %bb.1007:
	s_waitcnt vmcnt(0)
	v_cvt_f32_f64_e32 v2, v[0:1]
	v_cvt_f16_f32_e32 v2, v2
	global_store_short v[4:5], v2, off
.LBB7_1008:
	s_mov_b64 s[6:7], 0
.LBB7_1009:
	s_andn2_b64 vcc, exec, s[6:7]
	s_cbranch_vccnz .LBB7_1025
; %bb.1010:
	v_cmp_gt_i16_e32 vcc, 2, v6
	s_mov_b64 s[6:7], -1
	s_cbranch_vccnz .LBB7_1020
; %bb.1011:
	v_cmp_gt_i16_e32 vcc, 3, v6
	s_cbranch_vccnz .LBB7_1017
; %bb.1012:
	v_cmp_lt_i16_e32 vcc, 3, v6
	s_cbranch_vccz .LBB7_1014
; %bb.1013:
	s_waitcnt vmcnt(0)
	v_trunc_f64_e32 v[2:3], v[0:1]
	s_movk_i32 s6, 0xffe0
	v_ldexp_f64 v[8:9], v[2:3], s6
	v_floor_f64_e32 v[8:9], v[8:9]
	v_fmac_f64_e32 v[2:3], 0xc1f00000, v[8:9]
	v_cvt_i32_f64_e32 v11, v[8:9]
	v_cvt_u32_f64_e32 v10, v[2:3]
	s_mov_b64 s[6:7], 0
	global_store_dwordx2 v[4:5], v[10:11], off
.LBB7_1014:
	s_andn2_b64 vcc, exec, s[6:7]
	s_cbranch_vccnz .LBB7_1016
; %bb.1015:
	s_waitcnt vmcnt(0)
	v_cvt_i32_f64_e32 v2, v[0:1]
	global_store_dword v[4:5], v2, off
.LBB7_1016:
	s_mov_b64 s[6:7], 0
.LBB7_1017:
	s_andn2_b64 vcc, exec, s[6:7]
	s_cbranch_vccnz .LBB7_1019
; %bb.1018:
	s_waitcnt vmcnt(0)
	v_cvt_i32_f64_e32 v2, v[0:1]
	global_store_short v[4:5], v2, off
.LBB7_1019:
	s_mov_b64 s[6:7], 0
.LBB7_1020:
	s_andn2_b64 vcc, exec, s[6:7]
	s_cbranch_vccnz .LBB7_1025
; %bb.1021:
	v_cmp_lt_i16_e32 vcc, 0, v6
	s_mov_b64 s[6:7], -1
	s_cbranch_vccz .LBB7_1023
; %bb.1022:
	s_waitcnt vmcnt(0)
	v_cvt_i32_f64_e32 v2, v[0:1]
	s_mov_b64 s[6:7], 0
	global_store_byte v[4:5], v2, off
.LBB7_1023:
	s_andn2_b64 vcc, exec, s[6:7]
	s_cbranch_vccnz .LBB7_1025
; %bb.1024:
	s_waitcnt vmcnt(0)
	v_trunc_f64_e32 v[0:1], v[0:1]
	s_movk_i32 s6, 0xffe0
	v_ldexp_f64 v[2:3], v[0:1], s6
	v_floor_f64_e32 v[2:3], v[2:3]
	v_fmac_f64_e32 v[0:1], 0xc1f00000, v[2:3]
	v_cvt_u32_f64_e32 v0, v[0:1]
	global_store_byte v[4:5], v0, off
.LBB7_1025:
	s_or_b64 exec, exec, s[4:5]
	s_and_b64 s[46:47], s[50:51], exec
                                        ; implicit-def: $vgpr56
                                        ; implicit-def: $vgpr57
                                        ; implicit-def: $vgpr41
.LBB7_1026:
	s_or_saveexec_b64 s[44:45], s[44:45]
	s_mov_b64 s[4:5], 0
                                        ; implicit-def: $vgpr6
                                        ; implicit-def: $vgpr4_vgpr5
                                        ; implicit-def: $vgpr0_vgpr1
	s_xor_b64 exec, exec, s[44:45]
	s_cbranch_execz .LBB7_1994
; %bb.1027:
	v_mul_lo_u32 v4, s41, v56
	s_waitcnt vmcnt(0)
	v_ashrrev_i32_e32 v0, 31, v4
	v_mov_b32_e32 v1, s39
	v_add_co_u32_e32 v2, vcc, s38, v4
	v_addc_co_u32_e32 v3, vcc, v1, v0, vcc
	v_cmp_gt_i16_e64 s[4:5], 11, v57
	s_and_b64 vcc, exec, s[4:5]
	s_cbranch_vccnz .LBB7_1034
; %bb.1028:
	v_cmp_lt_i16_e32 vcc, 25, v57
	s_mov_b64 s[8:9], 0
	s_cbranch_vccz .LBB7_1036
; %bb.1029:
	v_cmp_lt_i16_e32 vcc, 28, v57
	s_cbranch_vccz .LBB7_1037
; %bb.1030:
	v_cmp_lt_i16_e32 vcc, 43, v57
	s_cbranch_vccz .LBB7_1038
; %bb.1031:
	v_cmp_lt_i16_e32 vcc, 45, v57
	s_cbranch_vccz .LBB7_1039
; %bb.1032:
	v_cmp_eq_u16_e32 vcc, 46, v57
	s_mov_b64 s[12:13], 0
	s_cbranch_vccz .LBB7_1042
; %bb.1033:
	global_load_dword v0, v[2:3], off
	s_mov_b64 s[6:7], 0
	s_mov_b64 s[10:11], -1
	s_waitcnt vmcnt(0)
	v_lshlrev_b32_e32 v0, 16, v0
	v_cvt_f64_f32_e32 v[0:1], v0
	s_branch .LBB7_1043
.LBB7_1034:
	s_mov_b64 s[10:11], 0
                                        ; implicit-def: $vgpr0_vgpr1
	s_mov_b64 s[48:49], s[46:47]
	s_cbranch_execnz .LBB7_1106
.LBB7_1035:
	s_andn2_b64 vcc, exec, s[10:11]
                                        ; implicit-def: $vgpr2_vgpr3
	s_cbranch_vccz .LBB7_1151
	s_branch .LBB7_1992
.LBB7_1036:
	s_mov_b64 s[10:11], 0
	s_mov_b64 s[6:7], 0
                                        ; implicit-def: $vgpr0_vgpr1
	s_cbranch_execnz .LBB7_1071
	s_branch .LBB7_1102
.LBB7_1037:
	s_mov_b64 s[12:13], -1
	s_mov_b64 s[10:11], 0
	s_mov_b64 s[6:7], 0
                                        ; implicit-def: $vgpr0_vgpr1
	s_branch .LBB7_1052
.LBB7_1038:
	s_mov_b64 s[10:11], 0
	s_mov_b64 s[6:7], 0
                                        ; implicit-def: $vgpr0_vgpr1
	s_cbranch_execnz .LBB7_1048
	s_branch .LBB7_1051
.LBB7_1039:
	s_mov_b64 s[12:13], -1
	s_mov_b64 s[10:11], 0
	s_mov_b64 s[6:7], 0
                                        ; implicit-def: $vgpr0_vgpr1
	s_branch .LBB7_1043
.LBB7_1040:
	s_or_saveexec_b64 s[10:11], s[10:11]
                                        ; implicit-def: $sgpr12
	s_xor_b64 exec, exec, s[10:11]
	s_cbranch_execz .LBB7_935
.LBB7_1041:
	s_mov_b32 s12, 0x46000000
	v_add_f32_e64 v3, |v2|, s12
	v_and_b32_e32 v3, 0xff, v3
	v_cmp_ne_u32_e32 vcc, 0, v3
	s_andn2_b64 s[8:9], s[8:9], exec
	s_and_b64 s[14:15], vcc, exec
	s_mov_b32 s12, 0
	s_or_b64 s[8:9], s[8:9], s[14:15]
	s_or_b64 exec, exec, s[10:11]
	v_mov_b32_e32 v7, s12
	s_and_saveexec_b64 s[10:11], s[8:9]
	s_cbranch_execnz .LBB7_936
	s_branch .LBB7_937
.LBB7_1042:
	s_mov_b64 s[6:7], -1
                                        ; implicit-def: $vgpr0_vgpr1
	s_mov_b64 s[10:11], 0
.LBB7_1043:
	s_and_b64 vcc, exec, s[12:13]
	s_cbranch_vccz .LBB7_1046
; %bb.1044:
	v_cmp_eq_u16_e32 vcc, 44, v57
	s_cbranch_vccz .LBB7_1047
; %bb.1045:
	global_load_ubyte v5, v[2:3], off
	s_movk_i32 s10, 0xff
	v_bfrev_b32_e32 v6, 4
	v_mov_b32_e32 v7, 0x7ff80000
	v_bfrev_b32_e32 v8, 28
	s_mov_b64 s[6:7], 0
	s_waitcnt vmcnt(0)
	v_lshlrev_b32_e32 v0, 23, v5
	v_cvt_f64_f32_e32 v[0:1], v0
	v_cmp_ne_u32_e32 vcc, s10, v5
	v_cndmask_b32_e32 v0, v6, v0, vcc
	v_cndmask_b32_e32 v1, v7, v1, vcc
	v_cmp_ne_u32_e32 vcc, 0, v5
	v_cndmask_b32_e32 v1, v8, v1, vcc
	v_cndmask_b32_e32 v0, 0, v0, vcc
	s_mov_b64 s[10:11], -1
.LBB7_1046:
	s_branch .LBB7_1051
.LBB7_1047:
	s_mov_b64 s[6:7], -1
                                        ; implicit-def: $vgpr0_vgpr1
	s_branch .LBB7_1051
.LBB7_1048:
	v_cmp_eq_u16_e32 vcc, 29, v57
	s_cbranch_vccz .LBB7_1050
; %bb.1049:
	global_load_dwordx2 v[0:1], v[2:3], off
	s_mov_b64 s[6:7], 0
	s_mov_b64 s[10:11], -1
	s_mov_b64 s[12:13], 0
	s_waitcnt vmcnt(0)
	v_cvt_f64_u32_e32 v[6:7], v1
	v_cvt_f64_u32_e32 v[0:1], v0
	v_ldexp_f64 v[6:7], v[6:7], 32
	v_add_f64 v[0:1], v[6:7], v[0:1]
	s_branch .LBB7_1052
.LBB7_1050:
	s_mov_b64 s[6:7], -1
                                        ; implicit-def: $vgpr0_vgpr1
.LBB7_1051:
	s_mov_b64 s[12:13], 0
.LBB7_1052:
	s_and_b64 vcc, exec, s[12:13]
	s_cbranch_vccz .LBB7_1070
; %bb.1053:
	v_cmp_gt_i16_e32 vcc, 27, v57
	s_cbranch_vccnz .LBB7_1056
; %bb.1054:
	v_cmp_lt_i16_e32 vcc, 27, v57
	s_cbranch_vccz .LBB7_1057
; %bb.1055:
	global_load_dword v0, v[2:3], off
	s_mov_b64 s[10:11], 0
	s_waitcnt vmcnt(0)
	v_cvt_f64_u32_e32 v[0:1], v0
	s_branch .LBB7_1058
.LBB7_1056:
	s_mov_b64 s[10:11], -1
                                        ; implicit-def: $vgpr0_vgpr1
	s_branch .LBB7_1061
.LBB7_1057:
	s_mov_b64 s[10:11], -1
                                        ; implicit-def: $vgpr0_vgpr1
.LBB7_1058:
	s_andn2_b64 vcc, exec, s[10:11]
	s_cbranch_vccnz .LBB7_1060
; %bb.1059:
	global_load_ushort v0, v[2:3], off
	s_waitcnt vmcnt(0)
	v_cvt_f64_u32_e32 v[0:1], v0
.LBB7_1060:
	s_mov_b64 s[10:11], 0
.LBB7_1061:
	s_andn2_b64 vcc, exec, s[10:11]
	s_cbranch_vccnz .LBB7_1069
; %bb.1062:
	global_load_ubyte v5, v[2:3], off
	s_movk_i32 s10, 0x7f
                                        ; implicit-def: $sgpr12_sgpr13
	s_waitcnt vmcnt(0)
	v_cmp_lt_i16_e32 vcc, s10, v5
	s_mov_b64 s[10:11], 0
	s_and_saveexec_b64 s[14:15], vcc
	s_xor_b64 s[14:15], exec, s[14:15]
	s_cbranch_execz .LBB7_1082
; %bb.1063:
	s_movk_i32 s10, 0x80
	v_cmp_eq_u16_e32 vcc, s10, v5
	s_mov_b64 s[16:17], -1
                                        ; implicit-def: $sgpr12_sgpr13
	s_and_saveexec_b64 s[10:11], vcc
; %bb.1064:
	s_mov_b32 s13, 0x7ff80000
	s_brev_b32 s12, 4
	s_xor_b64 s[16:17], exec, -1
; %bb.1065:
	s_or_b64 exec, exec, s[10:11]
	s_and_b64 s[10:11], s[16:17], exec
	s_or_saveexec_b64 s[14:15], s[14:15]
	v_pk_mov_b32 v[0:1], s[12:13], s[12:13] op_sel:[0,1]
	s_xor_b64 exec, exec, s[14:15]
	s_cbranch_execnz .LBB7_1083
.LBB7_1066:
	s_or_b64 exec, exec, s[14:15]
	s_and_saveexec_b64 s[12:13], s[10:11]
	s_cbranch_execz .LBB7_1068
.LBB7_1067:
	v_and_b32_e32 v1, 0xffff, v5
	v_lshlrev_b32_e32 v0, 24, v5
	v_and_b32_e32 v5, 7, v1
	v_ffbh_u32_e32 v7, v5
	v_min_u32_e32 v7, 32, v7
	v_subrev_u32_e32 v8, 28, v7
	v_bfe_u32 v6, v1, 3, 4
	v_lshlrev_b32_e32 v1, v8, v1
	v_sub_u32_e32 v7, 29, v7
	v_and_b32_e32 v1, 7, v1
	v_cmp_eq_u32_e32 vcc, 0, v6
	v_cndmask_b32_e32 v6, v6, v7, vcc
	v_cndmask_b32_e32 v1, v5, v1, vcc
	v_mov_b32_e32 v5, 0x3b800000
	v_lshlrev_b32_e32 v1, 20, v1
	v_and_b32_e32 v0, 0x80000000, v0
	v_lshl_add_u32 v5, v6, 23, v5
	v_or3_b32 v0, v0, v5, v1
	v_cvt_f64_f32_e32 v[0:1], v0
.LBB7_1068:
	s_or_b64 exec, exec, s[12:13]
.LBB7_1069:
	s_mov_b64 s[10:11], -1
.LBB7_1070:
	s_branch .LBB7_1102
.LBB7_1071:
	v_cmp_lt_i16_e32 vcc, 22, v57
	s_cbranch_vccz .LBB7_1081
; %bb.1072:
	v_cmp_gt_i16_e32 vcc, 24, v57
	s_cbranch_vccnz .LBB7_1084
; %bb.1073:
	v_cmp_lt_i16_e32 vcc, 24, v57
	s_cbranch_vccz .LBB7_1085
; %bb.1074:
	global_load_ubyte v5, v[2:3], off
	s_movk_i32 s8, 0x7f
                                        ; implicit-def: $sgpr10_sgpr11
	s_waitcnt vmcnt(0)
	v_cmp_lt_i16_e32 vcc, s8, v5
	s_mov_b64 s[8:9], 0
	s_and_saveexec_b64 s[12:13], vcc
	s_xor_b64 s[12:13], exec, s[12:13]
	s_cbranch_execz .LBB7_1096
; %bb.1075:
	s_movk_i32 s8, 0x80
	v_cmp_eq_u16_e32 vcc, s8, v5
	s_mov_b64 s[14:15], -1
                                        ; implicit-def: $sgpr10_sgpr11
	s_and_saveexec_b64 s[8:9], vcc
; %bb.1076:
	s_mov_b32 s11, 0x7ff80000
	s_brev_b32 s10, 4
	s_xor_b64 s[14:15], exec, -1
; %bb.1077:
	s_or_b64 exec, exec, s[8:9]
	s_and_b64 s[8:9], s[14:15], exec
	s_or_saveexec_b64 s[12:13], s[12:13]
	v_pk_mov_b32 v[0:1], s[10:11], s[10:11] op_sel:[0,1]
	s_xor_b64 exec, exec, s[12:13]
	s_cbranch_execnz .LBB7_1097
.LBB7_1078:
	s_or_b64 exec, exec, s[12:13]
	s_and_saveexec_b64 s[10:11], s[8:9]
	s_cbranch_execz .LBB7_1080
.LBB7_1079:
	v_and_b32_e32 v1, 0xffff, v5
	v_lshlrev_b32_e32 v0, 24, v5
	v_and_b32_e32 v5, 3, v1
	v_ffbh_u32_e32 v7, v5
	v_min_u32_e32 v7, 32, v7
	v_subrev_u32_e32 v8, 29, v7
	v_bfe_u32 v6, v1, 2, 5
	v_lshlrev_b32_e32 v1, v8, v1
	v_sub_u32_e32 v7, 30, v7
	v_and_b32_e32 v1, 3, v1
	v_cmp_eq_u32_e32 vcc, 0, v6
	v_cndmask_b32_e32 v6, v6, v7, vcc
	v_cndmask_b32_e32 v1, v5, v1, vcc
	v_mov_b32_e32 v5, 0x37800000
	v_lshlrev_b32_e32 v1, 21, v1
	v_and_b32_e32 v0, 0x80000000, v0
	v_lshl_add_u32 v5, v6, 23, v5
	v_or3_b32 v0, v0, v5, v1
	v_cvt_f64_f32_e32 v[0:1], v0
.LBB7_1080:
	s_or_b64 exec, exec, s[10:11]
	s_mov_b64 s[8:9], 0
	s_branch .LBB7_1086
.LBB7_1081:
                                        ; implicit-def: $vgpr0_vgpr1
	s_mov_b64 s[8:9], 0
	s_branch .LBB7_1092
.LBB7_1082:
	s_or_saveexec_b64 s[14:15], s[14:15]
	v_pk_mov_b32 v[0:1], s[12:13], s[12:13] op_sel:[0,1]
	s_xor_b64 exec, exec, s[14:15]
	s_cbranch_execz .LBB7_1066
.LBB7_1083:
	v_cmp_ne_u16_e32 vcc, 0, v5
	s_andn2_b64 s[10:11], s[10:11], exec
	s_and_b64 s[12:13], vcc, exec
	v_pk_mov_b32 v[0:1], 0, 0
	s_or_b64 s[10:11], s[10:11], s[12:13]
	s_or_b64 exec, exec, s[14:15]
	s_and_saveexec_b64 s[12:13], s[10:11]
	s_cbranch_execnz .LBB7_1067
	s_branch .LBB7_1068
.LBB7_1084:
	s_mov_b64 s[8:9], -1
                                        ; implicit-def: $vgpr0_vgpr1
	s_branch .LBB7_1089
.LBB7_1085:
	s_mov_b64 s[8:9], -1
                                        ; implicit-def: $vgpr0_vgpr1
.LBB7_1086:
	s_and_b64 vcc, exec, s[8:9]
	s_cbranch_vccz .LBB7_1088
; %bb.1087:
	global_load_ubyte v0, v[2:3], off
	s_mov_b32 s8, 0x7f800000
	s_waitcnt vmcnt(0)
	v_lshlrev_b32_e32 v0, 24, v0
	v_and_b32_e32 v1, 0x7f000000, v0
	v_ffbh_u32_e32 v5, v1
	v_min_u32_e32 v5, 32, v5
	v_sub_u32_e64 v5, v5, 4 clamp
	v_lshlrev_b32_e32 v7, v5, v1
	v_lshlrev_b32_e32 v5, 23, v5
	v_lshrrev_b32_e32 v7, 4, v7
	v_add_u32_e32 v6, 0x1000000, v1
	v_sub_u32_e32 v5, v7, v5
	v_ashrrev_i32_e32 v6, 8, v6
	v_add_u32_e32 v5, 0x3c000000, v5
	v_and_or_b32 v5, v6, s8, v5
	v_cmp_ne_u32_e32 vcc, 0, v1
	v_cndmask_b32_e32 v1, 0, v5, vcc
	s_brev_b32 s8, 1
	v_and_or_b32 v0, v0, s8, v1
	v_cvt_f64_f32_e32 v[0:1], v0
.LBB7_1088:
	s_mov_b64 s[8:9], 0
.LBB7_1089:
	s_andn2_b64 vcc, exec, s[8:9]
	s_cbranch_vccnz .LBB7_1091
; %bb.1090:
	global_load_ubyte v0, v[2:3], off
	s_movk_i32 s8, 0x7f00
	s_brev_b32 s9, 16
	s_waitcnt vmcnt(0)
	v_lshlrev_b16_e32 v1, 8, v0
	v_lshlrev_b32_e32 v0, 25, v0
	v_lshrrev_b32_e32 v5, 4, v0
	v_and_or_b32 v6, v1, s8, 0.5
	v_or_b32_e32 v5, 0x70000000, v5
	v_add_f32_e32 v6, -0.5, v6
	v_mul_f32_e32 v5, 0x7800000, v5
	v_cmp_gt_u32_e32 vcc, s9, v0
	v_bfe_i32 v1, v1, 0, 16
	v_cndmask_b32_e32 v0, v5, v6, vcc
	s_brev_b32 s8, 1
	v_and_or_b32 v0, v1, s8, v0
	v_cvt_f64_f32_e32 v[0:1], v0
.LBB7_1091:
	s_mov_b64 s[10:11], -1
	s_mov_b64 s[8:9], 0
	s_cbranch_execnz .LBB7_1102
.LBB7_1092:
	v_cmp_lt_i16_e32 vcc, 14, v57
	s_cbranch_vccz .LBB7_1095
; %bb.1093:
	v_cmp_eq_u16_e32 vcc, 15, v57
	s_cbranch_vccz .LBB7_1098
; %bb.1094:
	global_load_ushort v0, v[2:3], off
	s_mov_b64 s[6:7], 0
	s_mov_b64 s[10:11], -1
	s_waitcnt vmcnt(0)
	v_lshlrev_b32_e32 v0, 16, v0
	v_cvt_f64_f32_e32 v[0:1], v0
	s_branch .LBB7_1099
.LBB7_1095:
	s_mov_b64 s[12:13], -1
                                        ; implicit-def: $vgpr0_vgpr1
	s_branch .LBB7_1100
.LBB7_1096:
	s_or_saveexec_b64 s[12:13], s[12:13]
	v_pk_mov_b32 v[0:1], s[10:11], s[10:11] op_sel:[0,1]
	s_xor_b64 exec, exec, s[12:13]
	s_cbranch_execz .LBB7_1078
.LBB7_1097:
	v_cmp_ne_u16_e32 vcc, 0, v5
	s_andn2_b64 s[8:9], s[8:9], exec
	s_and_b64 s[10:11], vcc, exec
	v_pk_mov_b32 v[0:1], 0, 0
	s_or_b64 s[8:9], s[8:9], s[10:11]
	s_or_b64 exec, exec, s[12:13]
	s_and_saveexec_b64 s[10:11], s[8:9]
	s_cbranch_execnz .LBB7_1079
	s_branch .LBB7_1080
.LBB7_1098:
	s_mov_b64 s[6:7], -1
                                        ; implicit-def: $vgpr0_vgpr1
.LBB7_1099:
	s_mov_b64 s[12:13], 0
.LBB7_1100:
	s_and_b64 vcc, exec, s[12:13]
	s_cbranch_vccz .LBB7_1102
; %bb.1101:
	v_cmp_ne_u16_e64 s[6:7], 11, v57
	s_mov_b64 s[8:9], -1
                                        ; implicit-def: $vgpr0_vgpr1
.LBB7_1102:
	s_and_b64 vcc, exec, s[6:7]
	s_mov_b64 s[48:49], s[46:47]
	s_cbranch_vccnz .LBB7_1163
; %bb.1103:
	s_andn2_b64 vcc, exec, s[8:9]
	s_cbranch_vccnz .LBB7_1105
.LBB7_1104:
	global_load_ubyte v1, v[2:3], off
	v_mov_b32_e32 v5, 0x3ff00000
	v_mov_b32_e32 v0, 0
	s_mov_b64 s[10:11], -1
	s_waitcnt vmcnt(0)
	v_cmp_ne_u16_e32 vcc, 0, v1
	v_cndmask_b32_e32 v1, 0, v5, vcc
.LBB7_1105:
	s_branch .LBB7_1035
.LBB7_1106:
	v_cmp_gt_i16_e32 vcc, 5, v57
	s_cbranch_vccnz .LBB7_1111
; %bb.1107:
	v_cmp_gt_i16_e32 vcc, 8, v57
	s_cbranch_vccnz .LBB7_1112
; %bb.1108:
	;; [unrolled: 3-line block ×3, first 2 shown]
	v_cmp_lt_i16_e32 vcc, 9, v57
	s_cbranch_vccz .LBB7_1114
; %bb.1110:
	global_load_dwordx2 v[0:1], v[2:3], off
	s_mov_b64 s[6:7], 0
	s_branch .LBB7_1115
.LBB7_1111:
                                        ; implicit-def: $vgpr0_vgpr1
	s_branch .LBB7_1132
.LBB7_1112:
                                        ; implicit-def: $vgpr0_vgpr1
	s_branch .LBB7_1121
.LBB7_1113:
	s_mov_b64 s[6:7], -1
                                        ; implicit-def: $vgpr0_vgpr1
	s_branch .LBB7_1118
.LBB7_1114:
	s_mov_b64 s[6:7], -1
                                        ; implicit-def: $vgpr0_vgpr1
.LBB7_1115:
	s_andn2_b64 vcc, exec, s[6:7]
	s_cbranch_vccnz .LBB7_1117
; %bb.1116:
	global_load_dword v0, v[2:3], off
	s_waitcnt vmcnt(0)
	v_cvt_f64_f32_e32 v[0:1], v0
.LBB7_1117:
	s_mov_b64 s[6:7], 0
.LBB7_1118:
	s_andn2_b64 vcc, exec, s[6:7]
	s_cbranch_vccnz .LBB7_1120
; %bb.1119:
	global_load_dword v0, v[2:3], off
	s_waitcnt vmcnt(0)
	v_cvt_f32_f16_e32 v0, v0
	v_cvt_f64_f32_e32 v[0:1], v0
.LBB7_1120:
	s_cbranch_execnz .LBB7_1131
.LBB7_1121:
	v_cmp_gt_i16_e32 vcc, 6, v57
	s_cbranch_vccnz .LBB7_1124
; %bb.1122:
	v_cmp_lt_i16_e32 vcc, 6, v57
	s_cbranch_vccz .LBB7_1125
; %bb.1123:
	global_load_dwordx2 v[0:1], v[2:3], off
	s_mov_b64 s[6:7], 0
	s_branch .LBB7_1126
.LBB7_1124:
	s_mov_b64 s[6:7], -1
                                        ; implicit-def: $vgpr0_vgpr1
	s_branch .LBB7_1129
.LBB7_1125:
	s_mov_b64 s[6:7], -1
                                        ; implicit-def: $vgpr0_vgpr1
.LBB7_1126:
	s_andn2_b64 vcc, exec, s[6:7]
	s_cbranch_vccnz .LBB7_1128
; %bb.1127:
	global_load_dword v0, v[2:3], off
	s_waitcnt vmcnt(0)
	v_cvt_f64_f32_e32 v[0:1], v0
.LBB7_1128:
	s_mov_b64 s[6:7], 0
.LBB7_1129:
	s_andn2_b64 vcc, exec, s[6:7]
	s_cbranch_vccnz .LBB7_1131
; %bb.1130:
	global_load_ushort v0, v[2:3], off
	s_waitcnt vmcnt(0)
	v_cvt_f32_f16_e32 v0, v0
	v_cvt_f64_f32_e32 v[0:1], v0
.LBB7_1131:
	s_cbranch_execnz .LBB7_1150
.LBB7_1132:
	v_cmp_gt_i16_e32 vcc, 2, v57
	s_cbranch_vccnz .LBB7_1136
; %bb.1133:
	v_cmp_gt_i16_e32 vcc, 3, v57
	s_cbranch_vccnz .LBB7_1137
; %bb.1134:
	v_cmp_lt_i16_e32 vcc, 3, v57
	s_cbranch_vccz .LBB7_1138
; %bb.1135:
	global_load_dwordx2 v[0:1], v[2:3], off
	s_mov_b64 s[6:7], 0
	s_waitcnt vmcnt(0)
	v_cvt_f64_i32_e32 v[6:7], v1
	v_cvt_f64_u32_e32 v[0:1], v0
	v_ldexp_f64 v[6:7], v[6:7], 32
	v_add_f64 v[0:1], v[6:7], v[0:1]
	s_branch .LBB7_1139
.LBB7_1136:
                                        ; implicit-def: $vgpr0_vgpr1
	s_branch .LBB7_1145
.LBB7_1137:
	s_mov_b64 s[6:7], -1
                                        ; implicit-def: $vgpr0_vgpr1
	s_branch .LBB7_1142
.LBB7_1138:
	s_mov_b64 s[6:7], -1
                                        ; implicit-def: $vgpr0_vgpr1
.LBB7_1139:
	s_andn2_b64 vcc, exec, s[6:7]
	s_cbranch_vccnz .LBB7_1141
; %bb.1140:
	global_load_dword v0, v[2:3], off
	s_waitcnt vmcnt(0)
	v_cvt_f64_i32_e32 v[0:1], v0
.LBB7_1141:
	s_mov_b64 s[6:7], 0
.LBB7_1142:
	s_andn2_b64 vcc, exec, s[6:7]
	s_cbranch_vccnz .LBB7_1144
; %bb.1143:
	global_load_sshort v0, v[2:3], off
	s_waitcnt vmcnt(0)
	v_cvt_f64_i32_e32 v[0:1], v0
.LBB7_1144:
	s_cbranch_execnz .LBB7_1150
.LBB7_1145:
	v_cmp_lt_i16_e32 vcc, 0, v57
	s_cbranch_vccz .LBB7_1147
; %bb.1146:
	global_load_sbyte v0, v[2:3], off
	s_mov_b64 s[6:7], 0
	s_waitcnt vmcnt(0)
	v_cvt_f64_i32_e32 v[0:1], v0
	s_branch .LBB7_1148
.LBB7_1147:
	s_mov_b64 s[6:7], -1
                                        ; implicit-def: $vgpr0_vgpr1
.LBB7_1148:
	s_andn2_b64 vcc, exec, s[6:7]
	s_cbranch_vccnz .LBB7_1150
; %bb.1149:
	global_load_ubyte v0, v[2:3], off
	s_waitcnt vmcnt(0)
	v_cvt_f64_u32_e32 v[0:1], v0
.LBB7_1150:
                                        ; implicit-def: $vgpr2_vgpr3
.LBB7_1151:
	s_lshl_b32 s18, s41, 7
	v_add_u32_e32 v4, s18, v4
	v_ashrrev_i32_e32 v3, 31, v4
	v_mov_b32_e32 v5, s39
	v_add_co_u32_e32 v2, vcc, s38, v4
	v_addc_co_u32_e32 v3, vcc, v5, v3, vcc
	s_and_b64 vcc, exec, s[4:5]
	s_cbranch_vccnz .LBB7_1158
; %bb.1152:
	v_cmp_lt_i16_e32 vcc, 25, v57
	s_mov_b64 s[8:9], 0
	s_cbranch_vccz .LBB7_1160
; %bb.1153:
	v_cmp_lt_i16_e32 vcc, 28, v57
	s_cbranch_vccz .LBB7_1161
; %bb.1154:
	v_cmp_lt_i16_e32 vcc, 43, v57
	;; [unrolled: 3-line block ×3, first 2 shown]
	s_cbranch_vccz .LBB7_1164
; %bb.1156:
	v_cmp_eq_u16_e32 vcc, 46, v57
	s_mov_b64 s[12:13], 0
	s_cbranch_vccz .LBB7_1167
; %bb.1157:
	global_load_dword v5, v[2:3], off
	s_mov_b64 s[6:7], 0
	s_mov_b64 s[10:11], -1
	s_waitcnt vmcnt(0)
	v_lshlrev_b32_e32 v5, 16, v5
	v_cvt_f64_f32_e32 v[42:43], v5
	s_branch .LBB7_1168
.LBB7_1158:
	s_mov_b64 s[10:11], 0
                                        ; implicit-def: $vgpr42_vgpr43
	s_cbranch_execnz .LBB7_1233
.LBB7_1159:
	s_andn2_b64 vcc, exec, s[10:11]
	s_cbranch_vccnz .LBB7_1992
	s_branch .LBB7_1280
.LBB7_1160:
	s_mov_b64 s[10:11], 0
	s_mov_b64 s[6:7], 0
                                        ; implicit-def: $vgpr42_vgpr43
	s_cbranch_execnz .LBB7_1197
	s_branch .LBB7_1229
.LBB7_1161:
	s_mov_b64 s[12:13], -1
	s_mov_b64 s[10:11], 0
	s_mov_b64 s[6:7], 0
                                        ; implicit-def: $vgpr42_vgpr43
	s_branch .LBB7_1178
.LBB7_1162:
	s_mov_b64 s[12:13], -1
	s_mov_b64 s[10:11], 0
	s_mov_b64 s[6:7], 0
                                        ; implicit-def: $vgpr42_vgpr43
	s_branch .LBB7_1173
.LBB7_1163:
	s_or_b64 s[48:49], s[46:47], exec
	s_trap 2
                                        ; implicit-def: $vgpr0_vgpr1
	s_cbranch_execz .LBB7_1104
	s_branch .LBB7_1105
.LBB7_1164:
	s_mov_b64 s[12:13], -1
	s_mov_b64 s[10:11], 0
	s_mov_b64 s[6:7], 0
                                        ; implicit-def: $vgpr42_vgpr43
	s_branch .LBB7_1168
.LBB7_1165:
	s_or_saveexec_b64 s[12:13], s[12:13]
                                        ; implicit-def: $sgpr14
	s_xor_b64 exec, exec, s[12:13]
	s_cbranch_execz .LBB7_947
.LBB7_1166:
	s_mov_b32 s14, 0x42800000
	v_add_f32_e64 v3, |v2|, s14
	v_and_b32_e32 v3, 0xff, v3
	v_cmp_ne_u32_e32 vcc, 0, v3
	s_andn2_b64 s[10:11], s[10:11], exec
	s_and_b64 s[16:17], vcc, exec
	s_mov_b32 s14, 0
	s_or_b64 s[10:11], s[10:11], s[16:17]
	s_or_b64 exec, exec, s[12:13]
	v_mov_b32_e32 v7, s14
	s_and_saveexec_b64 s[12:13], s[10:11]
	s_cbranch_execnz .LBB7_948
	s_branch .LBB7_949
.LBB7_1167:
	s_mov_b64 s[6:7], -1
                                        ; implicit-def: $vgpr42_vgpr43
	s_mov_b64 s[10:11], 0
.LBB7_1168:
	s_and_b64 vcc, exec, s[12:13]
	s_cbranch_vccz .LBB7_1172
; %bb.1169:
	v_cmp_eq_u16_e32 vcc, 44, v57
	s_cbranch_vccz .LBB7_1171
; %bb.1170:
	global_load_ubyte v5, v[2:3], off
	s_movk_i32 s10, 0xff
	v_bfrev_b32_e32 v8, 4
	v_mov_b32_e32 v9, 0x7ff80000
	v_bfrev_b32_e32 v10, 28
	s_mov_b64 s[6:7], 0
	s_waitcnt vmcnt(0)
	v_lshlrev_b32_e32 v6, 23, v5
	v_cvt_f64_f32_e32 v[6:7], v6
	v_cmp_ne_u32_e32 vcc, s10, v5
	v_cndmask_b32_e32 v6, v8, v6, vcc
	v_cndmask_b32_e32 v7, v9, v7, vcc
	v_cmp_ne_u32_e32 vcc, 0, v5
	v_cndmask_b32_e32 v43, v10, v7, vcc
	v_cndmask_b32_e32 v42, 0, v6, vcc
	s_mov_b64 s[10:11], -1
	s_branch .LBB7_1172
.LBB7_1171:
	s_mov_b64 s[6:7], -1
                                        ; implicit-def: $vgpr42_vgpr43
.LBB7_1172:
	s_mov_b64 s[12:13], 0
.LBB7_1173:
	s_and_b64 vcc, exec, s[12:13]
	s_cbranch_vccz .LBB7_1177
; %bb.1174:
	v_cmp_eq_u16_e32 vcc, 29, v57
	s_cbranch_vccz .LBB7_1176
; %bb.1175:
	global_load_dwordx2 v[6:7], v[2:3], off
	s_mov_b64 s[6:7], 0
	s_mov_b64 s[10:11], -1
	s_mov_b64 s[12:13], 0
	s_waitcnt vmcnt(0)
	v_cvt_f64_u32_e32 v[8:9], v7
	v_cvt_f64_u32_e32 v[6:7], v6
	v_ldexp_f64 v[8:9], v[8:9], 32
	v_add_f64 v[42:43], v[8:9], v[6:7]
	s_branch .LBB7_1178
.LBB7_1176:
	s_mov_b64 s[6:7], -1
                                        ; implicit-def: $vgpr42_vgpr43
.LBB7_1177:
	s_mov_b64 s[12:13], 0
.LBB7_1178:
	s_and_b64 vcc, exec, s[12:13]
	s_cbranch_vccz .LBB7_1196
; %bb.1179:
	v_cmp_gt_i16_e32 vcc, 27, v57
	s_cbranch_vccnz .LBB7_1182
; %bb.1180:
	v_cmp_lt_i16_e32 vcc, 27, v57
	s_cbranch_vccz .LBB7_1183
; %bb.1181:
	global_load_dword v5, v[2:3], off
	s_mov_b64 s[10:11], 0
	s_waitcnt vmcnt(0)
	v_cvt_f64_u32_e32 v[42:43], v5
	s_branch .LBB7_1184
.LBB7_1182:
	s_mov_b64 s[10:11], -1
                                        ; implicit-def: $vgpr42_vgpr43
	s_branch .LBB7_1187
.LBB7_1183:
	s_mov_b64 s[10:11], -1
                                        ; implicit-def: $vgpr42_vgpr43
.LBB7_1184:
	s_andn2_b64 vcc, exec, s[10:11]
	s_cbranch_vccnz .LBB7_1186
; %bb.1185:
	global_load_ushort v5, v[2:3], off
	s_waitcnt vmcnt(0)
	v_cvt_f64_u32_e32 v[42:43], v5
.LBB7_1186:
	s_mov_b64 s[10:11], 0
.LBB7_1187:
	s_andn2_b64 vcc, exec, s[10:11]
	s_cbranch_vccnz .LBB7_1195
; %bb.1188:
	global_load_ubyte v5, v[2:3], off
	s_movk_i32 s10, 0x7f
                                        ; implicit-def: $sgpr12_sgpr13
	s_waitcnt vmcnt(0)
	v_cmp_lt_i16_e32 vcc, s10, v5
	s_mov_b64 s[10:11], 0
	s_and_saveexec_b64 s[14:15], vcc
	s_xor_b64 s[14:15], exec, s[14:15]
	s_cbranch_execz .LBB7_1208
; %bb.1189:
	s_movk_i32 s10, 0x80
	v_cmp_eq_u16_e32 vcc, s10, v5
	s_mov_b64 s[16:17], -1
                                        ; implicit-def: $sgpr12_sgpr13
	s_and_saveexec_b64 s[10:11], vcc
; %bb.1190:
	s_mov_b32 s13, 0x7ff80000
	s_brev_b32 s12, 4
	s_xor_b64 s[16:17], exec, -1
; %bb.1191:
	s_or_b64 exec, exec, s[10:11]
	s_and_b64 s[10:11], s[16:17], exec
	s_or_saveexec_b64 s[14:15], s[14:15]
	v_pk_mov_b32 v[42:43], s[12:13], s[12:13] op_sel:[0,1]
	s_xor_b64 exec, exec, s[14:15]
	s_cbranch_execnz .LBB7_1209
.LBB7_1192:
	s_or_b64 exec, exec, s[14:15]
	s_and_saveexec_b64 s[12:13], s[10:11]
	s_cbranch_execz .LBB7_1194
.LBB7_1193:
	v_lshlrev_b32_e32 v6, 24, v5
	v_and_b32_e32 v5, 0xffff, v5
	v_and_b32_e32 v7, 7, v5
	v_ffbh_u32_e32 v9, v7
	v_min_u32_e32 v9, 32, v9
	v_subrev_u32_e32 v10, 28, v9
	v_bfe_u32 v8, v5, 3, 4
	v_lshlrev_b32_e32 v5, v10, v5
	v_sub_u32_e32 v9, 29, v9
	v_and_b32_e32 v5, 7, v5
	v_cmp_eq_u32_e32 vcc, 0, v8
	v_cndmask_b32_e32 v8, v8, v9, vcc
	v_cndmask_b32_e32 v5, v7, v5, vcc
	v_mov_b32_e32 v7, 0x3b800000
	v_lshlrev_b32_e32 v5, 20, v5
	v_and_b32_e32 v6, 0x80000000, v6
	v_lshl_add_u32 v7, v8, 23, v7
	v_or3_b32 v5, v6, v7, v5
	v_cvt_f64_f32_e32 v[42:43], v5
.LBB7_1194:
	s_or_b64 exec, exec, s[12:13]
.LBB7_1195:
	s_mov_b64 s[10:11], -1
.LBB7_1196:
	s_branch .LBB7_1229
.LBB7_1197:
	v_cmp_lt_i16_e32 vcc, 22, v57
	s_cbranch_vccz .LBB7_1207
; %bb.1198:
	v_cmp_gt_i16_e32 vcc, 24, v57
	s_cbranch_vccnz .LBB7_1210
; %bb.1199:
	v_cmp_lt_i16_e32 vcc, 24, v57
	s_cbranch_vccz .LBB7_1211
; %bb.1200:
	global_load_ubyte v5, v[2:3], off
	s_movk_i32 s8, 0x7f
                                        ; implicit-def: $sgpr10_sgpr11
	s_waitcnt vmcnt(0)
	v_cmp_lt_i16_e32 vcc, s8, v5
	s_mov_b64 s[8:9], 0
	s_and_saveexec_b64 s[12:13], vcc
	s_xor_b64 s[12:13], exec, s[12:13]
	s_cbranch_execz .LBB7_1223
; %bb.1201:
	s_movk_i32 s8, 0x80
	v_cmp_eq_u16_e32 vcc, s8, v5
	s_mov_b64 s[14:15], -1
                                        ; implicit-def: $sgpr10_sgpr11
	s_and_saveexec_b64 s[8:9], vcc
; %bb.1202:
	s_mov_b32 s11, 0x7ff80000
	s_brev_b32 s10, 4
	s_xor_b64 s[14:15], exec, -1
; %bb.1203:
	s_or_b64 exec, exec, s[8:9]
	s_and_b64 s[8:9], s[14:15], exec
	s_or_saveexec_b64 s[12:13], s[12:13]
	v_pk_mov_b32 v[42:43], s[10:11], s[10:11] op_sel:[0,1]
	s_xor_b64 exec, exec, s[12:13]
	s_cbranch_execnz .LBB7_1224
.LBB7_1204:
	s_or_b64 exec, exec, s[12:13]
	s_and_saveexec_b64 s[10:11], s[8:9]
	s_cbranch_execz .LBB7_1206
.LBB7_1205:
	v_lshlrev_b32_e32 v6, 24, v5
	v_and_b32_e32 v5, 0xffff, v5
	v_and_b32_e32 v7, 3, v5
	v_ffbh_u32_e32 v9, v7
	v_min_u32_e32 v9, 32, v9
	v_subrev_u32_e32 v10, 29, v9
	v_bfe_u32 v8, v5, 2, 5
	v_lshlrev_b32_e32 v5, v10, v5
	v_sub_u32_e32 v9, 30, v9
	v_and_b32_e32 v5, 3, v5
	v_cmp_eq_u32_e32 vcc, 0, v8
	v_cndmask_b32_e32 v8, v8, v9, vcc
	v_cndmask_b32_e32 v5, v7, v5, vcc
	v_mov_b32_e32 v7, 0x37800000
	v_lshlrev_b32_e32 v5, 21, v5
	v_and_b32_e32 v6, 0x80000000, v6
	v_lshl_add_u32 v7, v8, 23, v7
	v_or3_b32 v5, v6, v7, v5
	v_cvt_f64_f32_e32 v[42:43], v5
.LBB7_1206:
	s_or_b64 exec, exec, s[10:11]
	s_mov_b64 s[8:9], 0
	s_branch .LBB7_1212
.LBB7_1207:
	s_mov_b64 s[8:9], -1
                                        ; implicit-def: $vgpr42_vgpr43
	s_branch .LBB7_1218
.LBB7_1208:
	s_or_saveexec_b64 s[14:15], s[14:15]
	v_pk_mov_b32 v[42:43], s[12:13], s[12:13] op_sel:[0,1]
	s_xor_b64 exec, exec, s[14:15]
	s_cbranch_execz .LBB7_1192
.LBB7_1209:
	v_cmp_ne_u16_e32 vcc, 0, v5
	s_andn2_b64 s[10:11], s[10:11], exec
	s_and_b64 s[12:13], vcc, exec
	v_pk_mov_b32 v[42:43], 0, 0
	s_or_b64 s[10:11], s[10:11], s[12:13]
	s_or_b64 exec, exec, s[14:15]
	s_and_saveexec_b64 s[12:13], s[10:11]
	s_cbranch_execnz .LBB7_1193
	s_branch .LBB7_1194
.LBB7_1210:
	s_mov_b64 s[8:9], -1
                                        ; implicit-def: $vgpr42_vgpr43
	s_branch .LBB7_1215
.LBB7_1211:
	s_mov_b64 s[8:9], -1
                                        ; implicit-def: $vgpr42_vgpr43
.LBB7_1212:
	s_and_b64 vcc, exec, s[8:9]
	s_cbranch_vccz .LBB7_1214
; %bb.1213:
	global_load_ubyte v5, v[2:3], off
	s_mov_b32 s8, 0x7f800000
	s_waitcnt vmcnt(0)
	v_lshlrev_b32_e32 v5, 24, v5
	v_and_b32_e32 v6, 0x7f000000, v5
	v_ffbh_u32_e32 v7, v6
	v_min_u32_e32 v7, 32, v7
	v_sub_u32_e64 v7, v7, 4 clamp
	v_lshlrev_b32_e32 v9, v7, v6
	v_lshlrev_b32_e32 v7, 23, v7
	v_lshrrev_b32_e32 v9, 4, v9
	v_add_u32_e32 v8, 0x1000000, v6
	v_sub_u32_e32 v7, v9, v7
	v_ashrrev_i32_e32 v8, 8, v8
	v_add_u32_e32 v7, 0x3c000000, v7
	v_and_or_b32 v7, v8, s8, v7
	v_cmp_ne_u32_e32 vcc, 0, v6
	v_cndmask_b32_e32 v6, 0, v7, vcc
	s_brev_b32 s8, 1
	v_and_or_b32 v5, v5, s8, v6
	v_cvt_f64_f32_e32 v[42:43], v5
.LBB7_1214:
	s_mov_b64 s[8:9], 0
.LBB7_1215:
	s_andn2_b64 vcc, exec, s[8:9]
	s_cbranch_vccnz .LBB7_1217
; %bb.1216:
	global_load_ubyte v5, v[2:3], off
	s_movk_i32 s8, 0x7f00
	s_brev_b32 s9, 16
	s_waitcnt vmcnt(0)
	v_lshlrev_b16_e32 v6, 8, v5
	v_lshlrev_b32_e32 v5, 25, v5
	v_lshrrev_b32_e32 v7, 4, v5
	v_and_or_b32 v8, v6, s8, 0.5
	v_or_b32_e32 v7, 0x70000000, v7
	v_add_f32_e32 v8, -0.5, v8
	v_mul_f32_e32 v7, 0x7800000, v7
	v_cmp_gt_u32_e32 vcc, s9, v5
	v_bfe_i32 v6, v6, 0, 16
	v_cndmask_b32_e32 v5, v7, v8, vcc
	s_brev_b32 s8, 1
	v_and_or_b32 v5, v6, s8, v5
	v_cvt_f64_f32_e32 v[42:43], v5
.LBB7_1217:
	s_mov_b64 s[8:9], 0
	s_mov_b64 s[10:11], -1
.LBB7_1218:
	s_andn2_b64 vcc, exec, s[8:9]
	s_mov_b64 s[8:9], 0
	s_cbranch_vccnz .LBB7_1229
; %bb.1219:
	v_cmp_lt_i16_e32 vcc, 14, v57
	s_cbranch_vccz .LBB7_1222
; %bb.1220:
	v_cmp_eq_u16_e32 vcc, 15, v57
	s_cbranch_vccz .LBB7_1225
; %bb.1221:
	global_load_ushort v5, v[2:3], off
	s_mov_b64 s[6:7], 0
	s_mov_b64 s[10:11], -1
	s_waitcnt vmcnt(0)
	v_lshlrev_b32_e32 v5, 16, v5
	v_cvt_f64_f32_e32 v[42:43], v5
	s_branch .LBB7_1226
.LBB7_1222:
	s_mov_b64 s[12:13], -1
                                        ; implicit-def: $vgpr42_vgpr43
	s_branch .LBB7_1227
.LBB7_1223:
	s_or_saveexec_b64 s[12:13], s[12:13]
	v_pk_mov_b32 v[42:43], s[10:11], s[10:11] op_sel:[0,1]
	s_xor_b64 exec, exec, s[12:13]
	s_cbranch_execz .LBB7_1204
.LBB7_1224:
	v_cmp_ne_u16_e32 vcc, 0, v5
	s_andn2_b64 s[8:9], s[8:9], exec
	s_and_b64 s[10:11], vcc, exec
	v_pk_mov_b32 v[42:43], 0, 0
	s_or_b64 s[8:9], s[8:9], s[10:11]
	s_or_b64 exec, exec, s[12:13]
	s_and_saveexec_b64 s[10:11], s[8:9]
	s_cbranch_execnz .LBB7_1205
	s_branch .LBB7_1206
.LBB7_1225:
	s_mov_b64 s[6:7], -1
                                        ; implicit-def: $vgpr42_vgpr43
.LBB7_1226:
	s_mov_b64 s[12:13], 0
.LBB7_1227:
	s_and_b64 vcc, exec, s[12:13]
	s_cbranch_vccz .LBB7_1229
; %bb.1228:
	v_cmp_ne_u16_e64 s[6:7], 11, v57
	s_mov_b64 s[8:9], -1
                                        ; implicit-def: $vgpr42_vgpr43
.LBB7_1229:
	s_and_b64 vcc, exec, s[6:7]
	s_cbranch_vccnz .LBB7_1292
; %bb.1230:
	s_andn2_b64 vcc, exec, s[8:9]
	s_cbranch_vccnz .LBB7_1232
.LBB7_1231:
	global_load_ubyte v5, v[2:3], off
	v_mov_b32_e32 v6, 0x3ff00000
	v_mov_b32_e32 v42, 0
	s_mov_b64 s[10:11], -1
	s_waitcnt vmcnt(0)
	v_cmp_ne_u16_e32 vcc, 0, v5
	v_cndmask_b32_e32 v43, 0, v6, vcc
.LBB7_1232:
	s_branch .LBB7_1159
.LBB7_1233:
	v_cmp_gt_i16_e32 vcc, 5, v57
	s_cbranch_vccnz .LBB7_1238
; %bb.1234:
	v_cmp_gt_i16_e32 vcc, 8, v57
	s_cbranch_vccnz .LBB7_1239
; %bb.1235:
	;; [unrolled: 3-line block ×3, first 2 shown]
	v_cmp_lt_i16_e32 vcc, 9, v57
	s_cbranch_vccz .LBB7_1241
; %bb.1237:
	global_load_dwordx2 v[42:43], v[2:3], off
	s_mov_b64 s[6:7], 0
	s_branch .LBB7_1242
.LBB7_1238:
                                        ; implicit-def: $vgpr42_vgpr43
	s_branch .LBB7_1260
.LBB7_1239:
	s_mov_b64 s[6:7], -1
                                        ; implicit-def: $vgpr42_vgpr43
	s_branch .LBB7_1248
.LBB7_1240:
	s_mov_b64 s[6:7], -1
                                        ; implicit-def: $vgpr42_vgpr43
	s_branch .LBB7_1245
.LBB7_1241:
	s_mov_b64 s[6:7], -1
                                        ; implicit-def: $vgpr42_vgpr43
.LBB7_1242:
	s_andn2_b64 vcc, exec, s[6:7]
	s_cbranch_vccnz .LBB7_1244
; %bb.1243:
	global_load_dword v5, v[2:3], off
	s_waitcnt vmcnt(0)
	v_cvt_f64_f32_e32 v[42:43], v5
.LBB7_1244:
	s_mov_b64 s[6:7], 0
.LBB7_1245:
	s_andn2_b64 vcc, exec, s[6:7]
	s_cbranch_vccnz .LBB7_1247
; %bb.1246:
	global_load_dword v5, v[2:3], off
	s_waitcnt vmcnt(0)
	v_cvt_f32_f16_e32 v5, v5
	v_cvt_f64_f32_e32 v[42:43], v5
.LBB7_1247:
	s_mov_b64 s[6:7], 0
.LBB7_1248:
	s_andn2_b64 vcc, exec, s[6:7]
	s_cbranch_vccnz .LBB7_1259
; %bb.1249:
	v_cmp_gt_i16_e32 vcc, 6, v57
	s_cbranch_vccnz .LBB7_1252
; %bb.1250:
	v_cmp_lt_i16_e32 vcc, 6, v57
	s_cbranch_vccz .LBB7_1253
; %bb.1251:
	global_load_dwordx2 v[42:43], v[2:3], off
	s_mov_b64 s[6:7], 0
	s_branch .LBB7_1254
.LBB7_1252:
	s_mov_b64 s[6:7], -1
                                        ; implicit-def: $vgpr42_vgpr43
	s_branch .LBB7_1257
.LBB7_1253:
	s_mov_b64 s[6:7], -1
                                        ; implicit-def: $vgpr42_vgpr43
.LBB7_1254:
	s_andn2_b64 vcc, exec, s[6:7]
	s_cbranch_vccnz .LBB7_1256
; %bb.1255:
	global_load_dword v5, v[2:3], off
	s_waitcnt vmcnt(0)
	v_cvt_f64_f32_e32 v[42:43], v5
.LBB7_1256:
	s_mov_b64 s[6:7], 0
.LBB7_1257:
	s_andn2_b64 vcc, exec, s[6:7]
	s_cbranch_vccnz .LBB7_1259
; %bb.1258:
	global_load_ushort v5, v[2:3], off
	s_waitcnt vmcnt(0)
	v_cvt_f32_f16_e32 v5, v5
	v_cvt_f64_f32_e32 v[42:43], v5
.LBB7_1259:
	s_cbranch_execnz .LBB7_1279
.LBB7_1260:
	v_cmp_gt_i16_e32 vcc, 2, v57
	s_cbranch_vccnz .LBB7_1264
; %bb.1261:
	v_cmp_gt_i16_e32 vcc, 3, v57
	s_cbranch_vccnz .LBB7_1265
; %bb.1262:
	v_cmp_lt_i16_e32 vcc, 3, v57
	s_cbranch_vccz .LBB7_1266
; %bb.1263:
	global_load_dwordx2 v[6:7], v[2:3], off
	s_mov_b64 s[6:7], 0
	s_waitcnt vmcnt(0)
	v_cvt_f64_i32_e32 v[8:9], v7
	v_cvt_f64_u32_e32 v[6:7], v6
	v_ldexp_f64 v[8:9], v[8:9], 32
	v_add_f64 v[42:43], v[8:9], v[6:7]
	s_branch .LBB7_1267
.LBB7_1264:
	s_mov_b64 s[6:7], -1
                                        ; implicit-def: $vgpr42_vgpr43
	s_branch .LBB7_1273
.LBB7_1265:
	s_mov_b64 s[6:7], -1
                                        ; implicit-def: $vgpr42_vgpr43
	s_branch .LBB7_1270
.LBB7_1266:
	s_mov_b64 s[6:7], -1
                                        ; implicit-def: $vgpr42_vgpr43
.LBB7_1267:
	s_andn2_b64 vcc, exec, s[6:7]
	s_cbranch_vccnz .LBB7_1269
; %bb.1268:
	global_load_dword v5, v[2:3], off
	s_waitcnt vmcnt(0)
	v_cvt_f64_i32_e32 v[42:43], v5
.LBB7_1269:
	s_mov_b64 s[6:7], 0
.LBB7_1270:
	s_andn2_b64 vcc, exec, s[6:7]
	s_cbranch_vccnz .LBB7_1272
; %bb.1271:
	global_load_sshort v5, v[2:3], off
	s_waitcnt vmcnt(0)
	v_cvt_f64_i32_e32 v[42:43], v5
.LBB7_1272:
	s_mov_b64 s[6:7], 0
.LBB7_1273:
	s_andn2_b64 vcc, exec, s[6:7]
	s_cbranch_vccnz .LBB7_1279
; %bb.1274:
	v_cmp_lt_i16_e32 vcc, 0, v57
	s_cbranch_vccz .LBB7_1276
; %bb.1275:
	global_load_sbyte v5, v[2:3], off
	s_mov_b64 s[6:7], 0
	s_waitcnt vmcnt(0)
	v_cvt_f64_i32_e32 v[42:43], v5
	s_branch .LBB7_1277
.LBB7_1276:
	s_mov_b64 s[6:7], -1
                                        ; implicit-def: $vgpr42_vgpr43
.LBB7_1277:
	s_andn2_b64 vcc, exec, s[6:7]
	s_cbranch_vccnz .LBB7_1279
; %bb.1278:
	global_load_ubyte v2, v[2:3], off
	s_waitcnt vmcnt(0)
	v_cvt_f64_u32_e32 v[42:43], v2
.LBB7_1279:
.LBB7_1280:
	v_add_u32_e32 v4, s18, v4
	v_ashrrev_i32_e32 v3, 31, v4
	v_mov_b32_e32 v5, s39
	v_add_co_u32_e32 v2, vcc, s38, v4
	v_addc_co_u32_e32 v3, vcc, v5, v3, vcc
	s_and_b64 vcc, exec, s[4:5]
	s_cbranch_vccnz .LBB7_1287
; %bb.1281:
	v_cmp_lt_i16_e32 vcc, 25, v57
	s_mov_b64 s[8:9], 0
	s_cbranch_vccz .LBB7_1289
; %bb.1282:
	v_cmp_lt_i16_e32 vcc, 28, v57
	s_cbranch_vccz .LBB7_1290
; %bb.1283:
	v_cmp_lt_i16_e32 vcc, 43, v57
	;; [unrolled: 3-line block ×3, first 2 shown]
	s_cbranch_vccz .LBB7_1293
; %bb.1285:
	v_cmp_eq_u16_e32 vcc, 46, v57
	s_mov_b64 s[12:13], 0
	s_cbranch_vccz .LBB7_1294
; %bb.1286:
	global_load_dword v5, v[2:3], off
	s_mov_b64 s[6:7], 0
	s_mov_b64 s[10:11], -1
	s_waitcnt vmcnt(0)
	v_lshlrev_b32_e32 v5, 16, v5
	v_cvt_f64_f32_e32 v[44:45], v5
	s_branch .LBB7_1295
.LBB7_1287:
	s_mov_b64 s[10:11], 0
                                        ; implicit-def: $vgpr44_vgpr45
	s_cbranch_execnz .LBB7_1361
.LBB7_1288:
	s_andn2_b64 vcc, exec, s[10:11]
	s_cbranch_vccnz .LBB7_1992
	s_branch .LBB7_1409
.LBB7_1289:
	s_mov_b64 s[12:13], -1
	s_mov_b64 s[10:11], 0
	s_mov_b64 s[6:7], 0
                                        ; implicit-def: $vgpr44_vgpr45
	s_branch .LBB7_1324
.LBB7_1290:
	s_mov_b64 s[12:13], -1
	s_mov_b64 s[10:11], 0
	s_mov_b64 s[6:7], 0
                                        ; implicit-def: $vgpr44_vgpr45
	s_branch .LBB7_1305
.LBB7_1291:
	s_mov_b64 s[12:13], -1
	s_mov_b64 s[10:11], 0
	s_mov_b64 s[6:7], 0
                                        ; implicit-def: $vgpr44_vgpr45
	s_branch .LBB7_1300
.LBB7_1292:
	s_trap 2
	s_or_b64 s[48:49], s[48:49], exec
                                        ; implicit-def: $vgpr42_vgpr43
	s_cbranch_execz .LBB7_1231
	s_branch .LBB7_1232
.LBB7_1293:
	s_mov_b64 s[12:13], -1
	s_mov_b64 s[10:11], 0
	s_mov_b64 s[6:7], 0
                                        ; implicit-def: $vgpr44_vgpr45
	s_branch .LBB7_1295
.LBB7_1294:
	s_mov_b64 s[6:7], -1
                                        ; implicit-def: $vgpr44_vgpr45
	s_mov_b64 s[10:11], 0
.LBB7_1295:
	s_and_b64 vcc, exec, s[12:13]
	s_cbranch_vccz .LBB7_1299
; %bb.1296:
	v_cmp_eq_u16_e32 vcc, 44, v57
	s_cbranch_vccz .LBB7_1298
; %bb.1297:
	global_load_ubyte v5, v[2:3], off
	s_movk_i32 s10, 0xff
	v_bfrev_b32_e32 v8, 4
	v_mov_b32_e32 v9, 0x7ff80000
	v_bfrev_b32_e32 v10, 28
	s_mov_b64 s[6:7], 0
	s_waitcnt vmcnt(0)
	v_lshlrev_b32_e32 v6, 23, v5
	v_cvt_f64_f32_e32 v[6:7], v6
	v_cmp_ne_u32_e32 vcc, s10, v5
	v_cndmask_b32_e32 v6, v8, v6, vcc
	v_cndmask_b32_e32 v7, v9, v7, vcc
	v_cmp_ne_u32_e32 vcc, 0, v5
	v_cndmask_b32_e32 v45, v10, v7, vcc
	v_cndmask_b32_e32 v44, 0, v6, vcc
	s_mov_b64 s[10:11], -1
	s_branch .LBB7_1299
.LBB7_1298:
	s_mov_b64 s[6:7], -1
                                        ; implicit-def: $vgpr44_vgpr45
.LBB7_1299:
	s_mov_b64 s[12:13], 0
.LBB7_1300:
	s_and_b64 vcc, exec, s[12:13]
	s_cbranch_vccz .LBB7_1304
; %bb.1301:
	v_cmp_eq_u16_e32 vcc, 29, v57
	s_cbranch_vccz .LBB7_1303
; %bb.1302:
	global_load_dwordx2 v[6:7], v[2:3], off
	s_mov_b64 s[6:7], 0
	s_mov_b64 s[10:11], -1
	s_mov_b64 s[12:13], 0
	s_waitcnt vmcnt(0)
	v_cvt_f64_u32_e32 v[8:9], v7
	v_cvt_f64_u32_e32 v[6:7], v6
	v_ldexp_f64 v[8:9], v[8:9], 32
	v_add_f64 v[44:45], v[8:9], v[6:7]
	s_branch .LBB7_1305
.LBB7_1303:
	s_mov_b64 s[6:7], -1
                                        ; implicit-def: $vgpr44_vgpr45
.LBB7_1304:
	s_mov_b64 s[12:13], 0
.LBB7_1305:
	s_and_b64 vcc, exec, s[12:13]
	s_cbranch_vccz .LBB7_1323
; %bb.1306:
	v_cmp_gt_i16_e32 vcc, 27, v57
	s_cbranch_vccnz .LBB7_1309
; %bb.1307:
	v_cmp_lt_i16_e32 vcc, 27, v57
	s_cbranch_vccz .LBB7_1310
; %bb.1308:
	global_load_dword v5, v[2:3], off
	s_mov_b64 s[10:11], 0
	s_waitcnt vmcnt(0)
	v_cvt_f64_u32_e32 v[44:45], v5
	s_branch .LBB7_1311
.LBB7_1309:
	s_mov_b64 s[10:11], -1
                                        ; implicit-def: $vgpr44_vgpr45
	s_branch .LBB7_1314
.LBB7_1310:
	s_mov_b64 s[10:11], -1
                                        ; implicit-def: $vgpr44_vgpr45
.LBB7_1311:
	s_andn2_b64 vcc, exec, s[10:11]
	s_cbranch_vccnz .LBB7_1313
; %bb.1312:
	global_load_ushort v5, v[2:3], off
	s_waitcnt vmcnt(0)
	v_cvt_f64_u32_e32 v[44:45], v5
.LBB7_1313:
	s_mov_b64 s[10:11], 0
.LBB7_1314:
	s_andn2_b64 vcc, exec, s[10:11]
	s_cbranch_vccnz .LBB7_1322
; %bb.1315:
	global_load_ubyte v5, v[2:3], off
	s_movk_i32 s10, 0x7f
                                        ; implicit-def: $sgpr12_sgpr13
	s_waitcnt vmcnt(0)
	v_cmp_lt_i16_e32 vcc, s10, v5
	s_mov_b64 s[10:11], 0
	s_and_saveexec_b64 s[14:15], vcc
	s_xor_b64 s[14:15], exec, s[14:15]
	s_cbranch_execz .LBB7_1336
; %bb.1316:
	s_movk_i32 s10, 0x80
	v_cmp_eq_u16_e32 vcc, s10, v5
	s_mov_b64 s[16:17], -1
                                        ; implicit-def: $sgpr12_sgpr13
	s_and_saveexec_b64 s[10:11], vcc
; %bb.1317:
	s_mov_b32 s13, 0x7ff80000
	s_brev_b32 s12, 4
	s_xor_b64 s[16:17], exec, -1
; %bb.1318:
	s_or_b64 exec, exec, s[10:11]
	s_and_b64 s[10:11], s[16:17], exec
	s_or_saveexec_b64 s[14:15], s[14:15]
	v_pk_mov_b32 v[44:45], s[12:13], s[12:13] op_sel:[0,1]
	s_xor_b64 exec, exec, s[14:15]
	s_cbranch_execnz .LBB7_1337
.LBB7_1319:
	s_or_b64 exec, exec, s[14:15]
	s_and_saveexec_b64 s[12:13], s[10:11]
	s_cbranch_execz .LBB7_1321
.LBB7_1320:
	v_lshlrev_b32_e32 v6, 24, v5
	v_and_b32_e32 v5, 0xffff, v5
	v_and_b32_e32 v7, 7, v5
	v_ffbh_u32_e32 v9, v7
	v_min_u32_e32 v9, 32, v9
	v_subrev_u32_e32 v10, 28, v9
	v_bfe_u32 v8, v5, 3, 4
	v_lshlrev_b32_e32 v5, v10, v5
	v_sub_u32_e32 v9, 29, v9
	v_and_b32_e32 v5, 7, v5
	v_cmp_eq_u32_e32 vcc, 0, v8
	v_cndmask_b32_e32 v8, v8, v9, vcc
	v_cndmask_b32_e32 v5, v7, v5, vcc
	v_mov_b32_e32 v7, 0x3b800000
	v_lshlrev_b32_e32 v5, 20, v5
	v_and_b32_e32 v6, 0x80000000, v6
	v_lshl_add_u32 v7, v8, 23, v7
	v_or3_b32 v5, v6, v7, v5
	v_cvt_f64_f32_e32 v[44:45], v5
.LBB7_1321:
	s_or_b64 exec, exec, s[12:13]
.LBB7_1322:
	s_mov_b64 s[10:11], -1
.LBB7_1323:
	s_mov_b64 s[12:13], 0
.LBB7_1324:
	s_and_b64 vcc, exec, s[12:13]
	s_cbranch_vccz .LBB7_1357
; %bb.1325:
	v_cmp_lt_i16_e32 vcc, 22, v57
	s_cbranch_vccz .LBB7_1335
; %bb.1326:
	v_cmp_gt_i16_e32 vcc, 24, v57
	s_cbranch_vccnz .LBB7_1338
; %bb.1327:
	v_cmp_lt_i16_e32 vcc, 24, v57
	s_cbranch_vccz .LBB7_1339
; %bb.1328:
	global_load_ubyte v5, v[2:3], off
	s_movk_i32 s8, 0x7f
                                        ; implicit-def: $sgpr10_sgpr11
	s_waitcnt vmcnt(0)
	v_cmp_lt_i16_e32 vcc, s8, v5
	s_mov_b64 s[8:9], 0
	s_and_saveexec_b64 s[12:13], vcc
	s_xor_b64 s[12:13], exec, s[12:13]
	s_cbranch_execz .LBB7_1351
; %bb.1329:
	s_movk_i32 s8, 0x80
	v_cmp_eq_u16_e32 vcc, s8, v5
	s_mov_b64 s[14:15], -1
                                        ; implicit-def: $sgpr10_sgpr11
	s_and_saveexec_b64 s[8:9], vcc
; %bb.1330:
	s_mov_b32 s11, 0x7ff80000
	s_brev_b32 s10, 4
	s_xor_b64 s[14:15], exec, -1
; %bb.1331:
	s_or_b64 exec, exec, s[8:9]
	s_and_b64 s[8:9], s[14:15], exec
	s_or_saveexec_b64 s[12:13], s[12:13]
	v_pk_mov_b32 v[44:45], s[10:11], s[10:11] op_sel:[0,1]
	s_xor_b64 exec, exec, s[12:13]
	s_cbranch_execnz .LBB7_1352
.LBB7_1332:
	s_or_b64 exec, exec, s[12:13]
	s_and_saveexec_b64 s[10:11], s[8:9]
	s_cbranch_execz .LBB7_1334
.LBB7_1333:
	v_lshlrev_b32_e32 v6, 24, v5
	v_and_b32_e32 v5, 0xffff, v5
	v_and_b32_e32 v7, 3, v5
	v_ffbh_u32_e32 v9, v7
	v_min_u32_e32 v9, 32, v9
	v_subrev_u32_e32 v10, 29, v9
	v_bfe_u32 v8, v5, 2, 5
	v_lshlrev_b32_e32 v5, v10, v5
	v_sub_u32_e32 v9, 30, v9
	v_and_b32_e32 v5, 3, v5
	v_cmp_eq_u32_e32 vcc, 0, v8
	v_cndmask_b32_e32 v8, v8, v9, vcc
	v_cndmask_b32_e32 v5, v7, v5, vcc
	v_mov_b32_e32 v7, 0x37800000
	v_lshlrev_b32_e32 v5, 21, v5
	v_and_b32_e32 v6, 0x80000000, v6
	v_lshl_add_u32 v7, v8, 23, v7
	v_or3_b32 v5, v6, v7, v5
	v_cvt_f64_f32_e32 v[44:45], v5
.LBB7_1334:
	s_or_b64 exec, exec, s[10:11]
	s_mov_b64 s[8:9], 0
	s_branch .LBB7_1340
.LBB7_1335:
	s_mov_b64 s[8:9], -1
                                        ; implicit-def: $vgpr44_vgpr45
	s_branch .LBB7_1346
.LBB7_1336:
	s_or_saveexec_b64 s[14:15], s[14:15]
	v_pk_mov_b32 v[44:45], s[12:13], s[12:13] op_sel:[0,1]
	s_xor_b64 exec, exec, s[14:15]
	s_cbranch_execz .LBB7_1319
.LBB7_1337:
	v_cmp_ne_u16_e32 vcc, 0, v5
	s_andn2_b64 s[10:11], s[10:11], exec
	s_and_b64 s[12:13], vcc, exec
	v_pk_mov_b32 v[44:45], 0, 0
	s_or_b64 s[10:11], s[10:11], s[12:13]
	s_or_b64 exec, exec, s[14:15]
	s_and_saveexec_b64 s[12:13], s[10:11]
	s_cbranch_execnz .LBB7_1320
	s_branch .LBB7_1321
.LBB7_1338:
	s_mov_b64 s[8:9], -1
                                        ; implicit-def: $vgpr44_vgpr45
	s_branch .LBB7_1343
.LBB7_1339:
	s_mov_b64 s[8:9], -1
                                        ; implicit-def: $vgpr44_vgpr45
.LBB7_1340:
	s_and_b64 vcc, exec, s[8:9]
	s_cbranch_vccz .LBB7_1342
; %bb.1341:
	global_load_ubyte v5, v[2:3], off
	s_mov_b32 s8, 0x7f800000
	s_waitcnt vmcnt(0)
	v_lshlrev_b32_e32 v5, 24, v5
	v_and_b32_e32 v6, 0x7f000000, v5
	v_ffbh_u32_e32 v7, v6
	v_min_u32_e32 v7, 32, v7
	v_sub_u32_e64 v7, v7, 4 clamp
	v_lshlrev_b32_e32 v9, v7, v6
	v_lshlrev_b32_e32 v7, 23, v7
	v_lshrrev_b32_e32 v9, 4, v9
	v_add_u32_e32 v8, 0x1000000, v6
	v_sub_u32_e32 v7, v9, v7
	v_ashrrev_i32_e32 v8, 8, v8
	v_add_u32_e32 v7, 0x3c000000, v7
	v_and_or_b32 v7, v8, s8, v7
	v_cmp_ne_u32_e32 vcc, 0, v6
	v_cndmask_b32_e32 v6, 0, v7, vcc
	s_brev_b32 s8, 1
	v_and_or_b32 v5, v5, s8, v6
	v_cvt_f64_f32_e32 v[44:45], v5
.LBB7_1342:
	s_mov_b64 s[8:9], 0
.LBB7_1343:
	s_andn2_b64 vcc, exec, s[8:9]
	s_cbranch_vccnz .LBB7_1345
; %bb.1344:
	global_load_ubyte v5, v[2:3], off
	s_movk_i32 s8, 0x7f00
	s_brev_b32 s9, 16
	s_waitcnt vmcnt(0)
	v_lshlrev_b16_e32 v6, 8, v5
	v_lshlrev_b32_e32 v5, 25, v5
	v_lshrrev_b32_e32 v7, 4, v5
	v_and_or_b32 v8, v6, s8, 0.5
	v_or_b32_e32 v7, 0x70000000, v7
	v_add_f32_e32 v8, -0.5, v8
	v_mul_f32_e32 v7, 0x7800000, v7
	v_cmp_gt_u32_e32 vcc, s9, v5
	v_bfe_i32 v6, v6, 0, 16
	v_cndmask_b32_e32 v5, v7, v8, vcc
	s_brev_b32 s8, 1
	v_and_or_b32 v5, v6, s8, v5
	v_cvt_f64_f32_e32 v[44:45], v5
.LBB7_1345:
	s_mov_b64 s[8:9], 0
	s_mov_b64 s[10:11], -1
.LBB7_1346:
	s_andn2_b64 vcc, exec, s[8:9]
	s_mov_b64 s[8:9], 0
	s_cbranch_vccnz .LBB7_1357
; %bb.1347:
	v_cmp_lt_i16_e32 vcc, 14, v57
	s_cbranch_vccz .LBB7_1350
; %bb.1348:
	v_cmp_eq_u16_e32 vcc, 15, v57
	s_cbranch_vccz .LBB7_1353
; %bb.1349:
	global_load_ushort v5, v[2:3], off
	s_mov_b64 s[6:7], 0
	s_mov_b64 s[10:11], -1
	s_waitcnt vmcnt(0)
	v_lshlrev_b32_e32 v5, 16, v5
	v_cvt_f64_f32_e32 v[44:45], v5
	s_branch .LBB7_1354
.LBB7_1350:
	s_mov_b64 s[12:13], -1
                                        ; implicit-def: $vgpr44_vgpr45
	s_branch .LBB7_1355
.LBB7_1351:
	s_or_saveexec_b64 s[12:13], s[12:13]
	v_pk_mov_b32 v[44:45], s[10:11], s[10:11] op_sel:[0,1]
	s_xor_b64 exec, exec, s[12:13]
	s_cbranch_execz .LBB7_1332
.LBB7_1352:
	v_cmp_ne_u16_e32 vcc, 0, v5
	s_andn2_b64 s[8:9], s[8:9], exec
	s_and_b64 s[10:11], vcc, exec
	v_pk_mov_b32 v[44:45], 0, 0
	s_or_b64 s[8:9], s[8:9], s[10:11]
	s_or_b64 exec, exec, s[12:13]
	s_and_saveexec_b64 s[10:11], s[8:9]
	s_cbranch_execnz .LBB7_1333
	s_branch .LBB7_1334
.LBB7_1353:
	s_mov_b64 s[6:7], -1
                                        ; implicit-def: $vgpr44_vgpr45
.LBB7_1354:
	s_mov_b64 s[12:13], 0
.LBB7_1355:
	s_and_b64 vcc, exec, s[12:13]
	s_cbranch_vccz .LBB7_1357
; %bb.1356:
	v_cmp_ne_u16_e64 s[6:7], 11, v57
	s_mov_b64 s[8:9], -1
                                        ; implicit-def: $vgpr44_vgpr45
.LBB7_1357:
	s_and_b64 vcc, exec, s[6:7]
	s_cbranch_vccnz .LBB7_1420
; %bb.1358:
	s_andn2_b64 vcc, exec, s[8:9]
	s_cbranch_vccnz .LBB7_1360
.LBB7_1359:
	global_load_ubyte v5, v[2:3], off
	v_mov_b32_e32 v6, 0x3ff00000
	v_mov_b32_e32 v44, 0
	s_mov_b64 s[10:11], -1
	s_waitcnt vmcnt(0)
	v_cmp_ne_u16_e32 vcc, 0, v5
	v_cndmask_b32_e32 v45, 0, v6, vcc
.LBB7_1360:
	s_branch .LBB7_1288
.LBB7_1361:
	v_cmp_gt_i16_e32 vcc, 5, v57
	s_cbranch_vccnz .LBB7_1366
; %bb.1362:
	v_cmp_gt_i16_e32 vcc, 8, v57
	s_cbranch_vccnz .LBB7_1367
; %bb.1363:
	;; [unrolled: 3-line block ×3, first 2 shown]
	v_cmp_lt_i16_e32 vcc, 9, v57
	s_cbranch_vccz .LBB7_1369
; %bb.1365:
	global_load_dwordx2 v[44:45], v[2:3], off
	s_mov_b64 s[6:7], 0
	s_branch .LBB7_1370
.LBB7_1366:
	s_mov_b64 s[6:7], -1
                                        ; implicit-def: $vgpr44_vgpr45
	s_branch .LBB7_1388
.LBB7_1367:
	s_mov_b64 s[6:7], -1
                                        ; implicit-def: $vgpr44_vgpr45
	s_branch .LBB7_1376
.LBB7_1368:
	s_mov_b64 s[6:7], -1
                                        ; implicit-def: $vgpr44_vgpr45
	s_branch .LBB7_1373
.LBB7_1369:
	s_mov_b64 s[6:7], -1
                                        ; implicit-def: $vgpr44_vgpr45
.LBB7_1370:
	s_andn2_b64 vcc, exec, s[6:7]
	s_cbranch_vccnz .LBB7_1372
; %bb.1371:
	global_load_dword v5, v[2:3], off
	s_waitcnt vmcnt(0)
	v_cvt_f64_f32_e32 v[44:45], v5
.LBB7_1372:
	s_mov_b64 s[6:7], 0
.LBB7_1373:
	s_andn2_b64 vcc, exec, s[6:7]
	s_cbranch_vccnz .LBB7_1375
; %bb.1374:
	global_load_dword v5, v[2:3], off
	s_waitcnt vmcnt(0)
	v_cvt_f32_f16_e32 v5, v5
	v_cvt_f64_f32_e32 v[44:45], v5
.LBB7_1375:
	s_mov_b64 s[6:7], 0
.LBB7_1376:
	s_andn2_b64 vcc, exec, s[6:7]
	s_cbranch_vccnz .LBB7_1387
; %bb.1377:
	v_cmp_gt_i16_e32 vcc, 6, v57
	s_cbranch_vccnz .LBB7_1380
; %bb.1378:
	v_cmp_lt_i16_e32 vcc, 6, v57
	s_cbranch_vccz .LBB7_1381
; %bb.1379:
	global_load_dwordx2 v[44:45], v[2:3], off
	s_mov_b64 s[6:7], 0
	s_branch .LBB7_1382
.LBB7_1380:
	s_mov_b64 s[6:7], -1
                                        ; implicit-def: $vgpr44_vgpr45
	s_branch .LBB7_1385
.LBB7_1381:
	s_mov_b64 s[6:7], -1
                                        ; implicit-def: $vgpr44_vgpr45
.LBB7_1382:
	s_andn2_b64 vcc, exec, s[6:7]
	s_cbranch_vccnz .LBB7_1384
; %bb.1383:
	global_load_dword v5, v[2:3], off
	s_waitcnt vmcnt(0)
	v_cvt_f64_f32_e32 v[44:45], v5
.LBB7_1384:
	s_mov_b64 s[6:7], 0
.LBB7_1385:
	s_andn2_b64 vcc, exec, s[6:7]
	s_cbranch_vccnz .LBB7_1387
; %bb.1386:
	global_load_ushort v5, v[2:3], off
	s_waitcnt vmcnt(0)
	v_cvt_f32_f16_e32 v5, v5
	v_cvt_f64_f32_e32 v[44:45], v5
.LBB7_1387:
	s_mov_b64 s[6:7], 0
.LBB7_1388:
	s_andn2_b64 vcc, exec, s[6:7]
	s_cbranch_vccnz .LBB7_1408
; %bb.1389:
	v_cmp_gt_i16_e32 vcc, 2, v57
	s_cbranch_vccnz .LBB7_1393
; %bb.1390:
	v_cmp_gt_i16_e32 vcc, 3, v57
	s_cbranch_vccnz .LBB7_1394
; %bb.1391:
	v_cmp_lt_i16_e32 vcc, 3, v57
	s_cbranch_vccz .LBB7_1395
; %bb.1392:
	global_load_dwordx2 v[6:7], v[2:3], off
	s_mov_b64 s[6:7], 0
	s_waitcnt vmcnt(0)
	v_cvt_f64_i32_e32 v[8:9], v7
	v_cvt_f64_u32_e32 v[6:7], v6
	v_ldexp_f64 v[8:9], v[8:9], 32
	v_add_f64 v[44:45], v[8:9], v[6:7]
	s_branch .LBB7_1396
.LBB7_1393:
	s_mov_b64 s[6:7], -1
                                        ; implicit-def: $vgpr44_vgpr45
	s_branch .LBB7_1402
.LBB7_1394:
	s_mov_b64 s[6:7], -1
                                        ; implicit-def: $vgpr44_vgpr45
	s_branch .LBB7_1399
.LBB7_1395:
	s_mov_b64 s[6:7], -1
                                        ; implicit-def: $vgpr44_vgpr45
.LBB7_1396:
	s_andn2_b64 vcc, exec, s[6:7]
	s_cbranch_vccnz .LBB7_1398
; %bb.1397:
	global_load_dword v5, v[2:3], off
	s_waitcnt vmcnt(0)
	v_cvt_f64_i32_e32 v[44:45], v5
.LBB7_1398:
	s_mov_b64 s[6:7], 0
.LBB7_1399:
	s_andn2_b64 vcc, exec, s[6:7]
	s_cbranch_vccnz .LBB7_1401
; %bb.1400:
	global_load_sshort v5, v[2:3], off
	s_waitcnt vmcnt(0)
	v_cvt_f64_i32_e32 v[44:45], v5
.LBB7_1401:
	s_mov_b64 s[6:7], 0
.LBB7_1402:
	s_andn2_b64 vcc, exec, s[6:7]
	s_cbranch_vccnz .LBB7_1408
; %bb.1403:
	v_cmp_lt_i16_e32 vcc, 0, v57
	s_cbranch_vccz .LBB7_1405
; %bb.1404:
	global_load_sbyte v5, v[2:3], off
	s_mov_b64 s[6:7], 0
	s_waitcnt vmcnt(0)
	v_cvt_f64_i32_e32 v[44:45], v5
	s_branch .LBB7_1406
.LBB7_1405:
	s_mov_b64 s[6:7], -1
                                        ; implicit-def: $vgpr44_vgpr45
.LBB7_1406:
	s_andn2_b64 vcc, exec, s[6:7]
	s_cbranch_vccnz .LBB7_1408
; %bb.1407:
	global_load_ubyte v2, v[2:3], off
	s_waitcnt vmcnt(0)
	v_cvt_f64_u32_e32 v[44:45], v2
.LBB7_1408:
.LBB7_1409:
	v_add_u32_e32 v2, s18, v4
	v_ashrrev_i32_e32 v3, 31, v2
	v_mov_b32_e32 v4, s39
	v_add_co_u32_e32 v2, vcc, s38, v2
	v_addc_co_u32_e32 v3, vcc, v4, v3, vcc
	s_and_b64 vcc, exec, s[4:5]
	s_cbranch_vccnz .LBB7_1416
; %bb.1410:
	v_cmp_lt_i16_e32 vcc, 25, v57
	s_mov_b64 s[6:7], 0
	s_cbranch_vccz .LBB7_1417
; %bb.1411:
	v_cmp_lt_i16_e32 vcc, 28, v57
	s_cbranch_vccz .LBB7_1418
; %bb.1412:
	v_cmp_lt_i16_e32 vcc, 43, v57
	;; [unrolled: 3-line block ×3, first 2 shown]
	s_cbranch_vccz .LBB7_1421
; %bb.1414:
	v_cmp_eq_u16_e32 vcc, 46, v57
	s_mov_b64 s[10:11], 0
	s_cbranch_vccz .LBB7_1422
; %bb.1415:
	global_load_dword v4, v[2:3], off
	s_mov_b64 s[4:5], 0
	s_mov_b64 s[8:9], -1
	s_waitcnt vmcnt(0)
	v_lshlrev_b32_e32 v4, 16, v4
	v_cvt_f64_f32_e32 v[46:47], v4
	s_branch .LBB7_1423
.LBB7_1416:
	s_mov_b64 s[4:5], -1
	s_mov_b64 s[8:9], 0
                                        ; implicit-def: $vgpr46_vgpr47
	s_branch .LBB7_1489
.LBB7_1417:
	s_mov_b64 s[10:11], -1
	s_mov_b64 s[8:9], 0
	s_mov_b64 s[4:5], 0
                                        ; implicit-def: $vgpr46_vgpr47
	s_branch .LBB7_1452
.LBB7_1418:
	s_mov_b64 s[10:11], -1
	s_mov_b64 s[8:9], 0
	s_mov_b64 s[4:5], 0
                                        ; implicit-def: $vgpr46_vgpr47
	s_branch .LBB7_1433
.LBB7_1419:
	s_mov_b64 s[10:11], -1
	s_mov_b64 s[8:9], 0
	s_mov_b64 s[4:5], 0
                                        ; implicit-def: $vgpr46_vgpr47
	s_branch .LBB7_1428
.LBB7_1420:
	s_trap 2
	s_or_b64 s[48:49], s[48:49], exec
                                        ; implicit-def: $vgpr44_vgpr45
	s_cbranch_execz .LBB7_1359
	s_branch .LBB7_1360
.LBB7_1421:
	s_mov_b64 s[10:11], -1
	s_mov_b64 s[8:9], 0
	s_mov_b64 s[4:5], 0
                                        ; implicit-def: $vgpr46_vgpr47
	s_branch .LBB7_1423
.LBB7_1422:
	s_mov_b64 s[4:5], -1
                                        ; implicit-def: $vgpr46_vgpr47
	s_mov_b64 s[8:9], 0
.LBB7_1423:
	s_and_b64 vcc, exec, s[10:11]
	s_cbranch_vccz .LBB7_1427
; %bb.1424:
	v_cmp_eq_u16_e32 vcc, 44, v57
	s_cbranch_vccz .LBB7_1426
; %bb.1425:
	global_load_ubyte v6, v[2:3], off
	s_movk_i32 s8, 0xff
	v_bfrev_b32_e32 v7, 4
	v_mov_b32_e32 v8, 0x7ff80000
	v_bfrev_b32_e32 v9, 28
	s_mov_b64 s[4:5], 0
	s_waitcnt vmcnt(0)
	v_lshlrev_b32_e32 v4, 23, v6
	v_cvt_f64_f32_e32 v[4:5], v4
	v_cmp_ne_u32_e32 vcc, s8, v6
	v_cndmask_b32_e32 v4, v7, v4, vcc
	v_cndmask_b32_e32 v5, v8, v5, vcc
	v_cmp_ne_u32_e32 vcc, 0, v6
	v_cndmask_b32_e32 v47, v9, v5, vcc
	v_cndmask_b32_e32 v46, 0, v4, vcc
	s_mov_b64 s[8:9], -1
	s_branch .LBB7_1427
.LBB7_1426:
	s_mov_b64 s[4:5], -1
                                        ; implicit-def: $vgpr46_vgpr47
.LBB7_1427:
	s_mov_b64 s[10:11], 0
.LBB7_1428:
	s_and_b64 vcc, exec, s[10:11]
	s_cbranch_vccz .LBB7_1432
; %bb.1429:
	v_cmp_eq_u16_e32 vcc, 29, v57
	s_cbranch_vccz .LBB7_1431
; %bb.1430:
	global_load_dwordx2 v[4:5], v[2:3], off
	s_mov_b64 s[4:5], 0
	s_mov_b64 s[8:9], -1
	s_mov_b64 s[10:11], 0
	s_waitcnt vmcnt(0)
	v_cvt_f64_u32_e32 v[6:7], v5
	v_cvt_f64_u32_e32 v[4:5], v4
	v_ldexp_f64 v[6:7], v[6:7], 32
	v_add_f64 v[46:47], v[6:7], v[4:5]
	s_branch .LBB7_1433
.LBB7_1431:
	s_mov_b64 s[4:5], -1
                                        ; implicit-def: $vgpr46_vgpr47
.LBB7_1432:
	s_mov_b64 s[10:11], 0
.LBB7_1433:
	s_and_b64 vcc, exec, s[10:11]
	s_cbranch_vccz .LBB7_1451
; %bb.1434:
	v_cmp_gt_i16_e32 vcc, 27, v57
	s_cbranch_vccnz .LBB7_1437
; %bb.1435:
	v_cmp_lt_i16_e32 vcc, 27, v57
	s_cbranch_vccz .LBB7_1438
; %bb.1436:
	global_load_dword v4, v[2:3], off
	s_mov_b64 s[8:9], 0
	s_waitcnt vmcnt(0)
	v_cvt_f64_u32_e32 v[46:47], v4
	s_branch .LBB7_1439
.LBB7_1437:
	s_mov_b64 s[8:9], -1
                                        ; implicit-def: $vgpr46_vgpr47
	s_branch .LBB7_1442
.LBB7_1438:
	s_mov_b64 s[8:9], -1
                                        ; implicit-def: $vgpr46_vgpr47
.LBB7_1439:
	s_andn2_b64 vcc, exec, s[8:9]
	s_cbranch_vccnz .LBB7_1441
; %bb.1440:
	global_load_ushort v4, v[2:3], off
	s_waitcnt vmcnt(0)
	v_cvt_f64_u32_e32 v[46:47], v4
.LBB7_1441:
	s_mov_b64 s[8:9], 0
.LBB7_1442:
	s_andn2_b64 vcc, exec, s[8:9]
	s_cbranch_vccnz .LBB7_1450
; %bb.1443:
	global_load_ubyte v4, v[2:3], off
	s_movk_i32 s8, 0x7f
                                        ; implicit-def: $sgpr10_sgpr11
	s_waitcnt vmcnt(0)
	v_cmp_lt_i16_e32 vcc, s8, v4
	s_mov_b64 s[8:9], 0
	s_and_saveexec_b64 s[12:13], vcc
	s_xor_b64 s[12:13], exec, s[12:13]
	s_cbranch_execz .LBB7_1464
; %bb.1444:
	s_movk_i32 s8, 0x80
	v_cmp_eq_u16_e32 vcc, s8, v4
	s_mov_b64 s[14:15], -1
                                        ; implicit-def: $sgpr10_sgpr11
	s_and_saveexec_b64 s[8:9], vcc
; %bb.1445:
	s_mov_b32 s11, 0x7ff80000
	s_brev_b32 s10, 4
	s_xor_b64 s[14:15], exec, -1
; %bb.1446:
	s_or_b64 exec, exec, s[8:9]
	s_and_b64 s[8:9], s[14:15], exec
	s_or_saveexec_b64 s[12:13], s[12:13]
	v_pk_mov_b32 v[46:47], s[10:11], s[10:11] op_sel:[0,1]
	s_xor_b64 exec, exec, s[12:13]
	s_cbranch_execnz .LBB7_1465
.LBB7_1447:
	s_or_b64 exec, exec, s[12:13]
	s_and_saveexec_b64 s[10:11], s[8:9]
	s_cbranch_execz .LBB7_1449
.LBB7_1448:
	v_lshlrev_b32_e32 v5, 24, v4
	v_and_b32_e32 v4, 0xffff, v4
	v_and_b32_e32 v6, 7, v4
	v_ffbh_u32_e32 v8, v6
	v_min_u32_e32 v8, 32, v8
	v_subrev_u32_e32 v9, 28, v8
	v_bfe_u32 v7, v4, 3, 4
	v_lshlrev_b32_e32 v4, v9, v4
	v_sub_u32_e32 v8, 29, v8
	v_and_b32_e32 v4, 7, v4
	v_cmp_eq_u32_e32 vcc, 0, v7
	v_cndmask_b32_e32 v7, v7, v8, vcc
	v_cndmask_b32_e32 v4, v6, v4, vcc
	v_mov_b32_e32 v6, 0x3b800000
	v_lshlrev_b32_e32 v4, 20, v4
	v_and_b32_e32 v5, 0x80000000, v5
	v_lshl_add_u32 v6, v7, 23, v6
	v_or3_b32 v4, v5, v6, v4
	v_cvt_f64_f32_e32 v[46:47], v4
.LBB7_1449:
	s_or_b64 exec, exec, s[10:11]
.LBB7_1450:
	s_mov_b64 s[8:9], -1
.LBB7_1451:
	s_mov_b64 s[10:11], 0
.LBB7_1452:
	s_and_b64 vcc, exec, s[10:11]
	s_cbranch_vccz .LBB7_1485
; %bb.1453:
	v_cmp_lt_i16_e32 vcc, 22, v57
	s_cbranch_vccz .LBB7_1463
; %bb.1454:
	v_cmp_gt_i16_e32 vcc, 24, v57
	s_cbranch_vccnz .LBB7_1466
; %bb.1455:
	v_cmp_lt_i16_e32 vcc, 24, v57
	s_cbranch_vccz .LBB7_1467
; %bb.1456:
	global_load_ubyte v4, v[2:3], off
	s_movk_i32 s6, 0x7f
                                        ; implicit-def: $sgpr8_sgpr9
	s_waitcnt vmcnt(0)
	v_cmp_lt_i16_e32 vcc, s6, v4
	s_mov_b64 s[6:7], 0
	s_and_saveexec_b64 s[10:11], vcc
	s_xor_b64 s[10:11], exec, s[10:11]
	s_cbranch_execz .LBB7_1479
; %bb.1457:
	s_movk_i32 s6, 0x80
	v_cmp_eq_u16_e32 vcc, s6, v4
	s_mov_b64 s[12:13], -1
                                        ; implicit-def: $sgpr8_sgpr9
	s_and_saveexec_b64 s[6:7], vcc
; %bb.1458:
	s_mov_b32 s9, 0x7ff80000
	s_brev_b32 s8, 4
	s_xor_b64 s[12:13], exec, -1
; %bb.1459:
	s_or_b64 exec, exec, s[6:7]
	s_and_b64 s[6:7], s[12:13], exec
	s_or_saveexec_b64 s[10:11], s[10:11]
	v_pk_mov_b32 v[46:47], s[8:9], s[8:9] op_sel:[0,1]
	s_xor_b64 exec, exec, s[10:11]
	s_cbranch_execnz .LBB7_1480
.LBB7_1460:
	s_or_b64 exec, exec, s[10:11]
	s_and_saveexec_b64 s[8:9], s[6:7]
	s_cbranch_execz .LBB7_1462
.LBB7_1461:
	v_lshlrev_b32_e32 v5, 24, v4
	v_and_b32_e32 v4, 0xffff, v4
	v_and_b32_e32 v6, 3, v4
	v_ffbh_u32_e32 v8, v6
	v_min_u32_e32 v8, 32, v8
	v_subrev_u32_e32 v9, 29, v8
	v_bfe_u32 v7, v4, 2, 5
	v_lshlrev_b32_e32 v4, v9, v4
	v_sub_u32_e32 v8, 30, v8
	v_and_b32_e32 v4, 3, v4
	v_cmp_eq_u32_e32 vcc, 0, v7
	v_cndmask_b32_e32 v7, v7, v8, vcc
	v_cndmask_b32_e32 v4, v6, v4, vcc
	v_mov_b32_e32 v6, 0x37800000
	v_lshlrev_b32_e32 v4, 21, v4
	v_and_b32_e32 v5, 0x80000000, v5
	v_lshl_add_u32 v6, v7, 23, v6
	v_or3_b32 v4, v5, v6, v4
	v_cvt_f64_f32_e32 v[46:47], v4
.LBB7_1462:
	s_or_b64 exec, exec, s[8:9]
	s_mov_b64 s[6:7], 0
	s_branch .LBB7_1468
.LBB7_1463:
	s_mov_b64 s[6:7], -1
                                        ; implicit-def: $vgpr46_vgpr47
	s_branch .LBB7_1474
.LBB7_1464:
	s_or_saveexec_b64 s[12:13], s[12:13]
	v_pk_mov_b32 v[46:47], s[10:11], s[10:11] op_sel:[0,1]
	s_xor_b64 exec, exec, s[12:13]
	s_cbranch_execz .LBB7_1447
.LBB7_1465:
	v_cmp_ne_u16_e32 vcc, 0, v4
	s_andn2_b64 s[8:9], s[8:9], exec
	s_and_b64 s[10:11], vcc, exec
	v_pk_mov_b32 v[46:47], 0, 0
	s_or_b64 s[8:9], s[8:9], s[10:11]
	s_or_b64 exec, exec, s[12:13]
	s_and_saveexec_b64 s[10:11], s[8:9]
	s_cbranch_execnz .LBB7_1448
	s_branch .LBB7_1449
.LBB7_1466:
	s_mov_b64 s[6:7], -1
                                        ; implicit-def: $vgpr46_vgpr47
	s_branch .LBB7_1471
.LBB7_1467:
	s_mov_b64 s[6:7], -1
                                        ; implicit-def: $vgpr46_vgpr47
.LBB7_1468:
	s_and_b64 vcc, exec, s[6:7]
	s_cbranch_vccz .LBB7_1470
; %bb.1469:
	global_load_ubyte v4, v[2:3], off
	s_mov_b32 s6, 0x7f800000
	s_waitcnt vmcnt(0)
	v_lshlrev_b32_e32 v4, 24, v4
	v_and_b32_e32 v5, 0x7f000000, v4
	v_ffbh_u32_e32 v6, v5
	v_min_u32_e32 v6, 32, v6
	v_sub_u32_e64 v6, v6, 4 clamp
	v_lshlrev_b32_e32 v8, v6, v5
	v_lshlrev_b32_e32 v6, 23, v6
	v_lshrrev_b32_e32 v8, 4, v8
	v_add_u32_e32 v7, 0x1000000, v5
	v_sub_u32_e32 v6, v8, v6
	v_ashrrev_i32_e32 v7, 8, v7
	v_add_u32_e32 v6, 0x3c000000, v6
	v_and_or_b32 v6, v7, s6, v6
	v_cmp_ne_u32_e32 vcc, 0, v5
	v_cndmask_b32_e32 v5, 0, v6, vcc
	s_brev_b32 s6, 1
	v_and_or_b32 v4, v4, s6, v5
	v_cvt_f64_f32_e32 v[46:47], v4
.LBB7_1470:
	s_mov_b64 s[6:7], 0
.LBB7_1471:
	s_andn2_b64 vcc, exec, s[6:7]
	s_cbranch_vccnz .LBB7_1473
; %bb.1472:
	global_load_ubyte v4, v[2:3], off
	s_movk_i32 s6, 0x7f00
	s_brev_b32 s7, 16
	s_waitcnt vmcnt(0)
	v_lshlrev_b16_e32 v5, 8, v4
	v_lshlrev_b32_e32 v4, 25, v4
	v_lshrrev_b32_e32 v6, 4, v4
	v_and_or_b32 v7, v5, s6, 0.5
	v_or_b32_e32 v6, 0x70000000, v6
	v_add_f32_e32 v7, -0.5, v7
	v_mul_f32_e32 v6, 0x7800000, v6
	v_cmp_gt_u32_e32 vcc, s7, v4
	v_bfe_i32 v5, v5, 0, 16
	v_cndmask_b32_e32 v4, v6, v7, vcc
	s_brev_b32 s6, 1
	v_and_or_b32 v4, v5, s6, v4
	v_cvt_f64_f32_e32 v[46:47], v4
.LBB7_1473:
	s_mov_b64 s[6:7], 0
	s_mov_b64 s[8:9], -1
.LBB7_1474:
	s_andn2_b64 vcc, exec, s[6:7]
	s_mov_b64 s[6:7], 0
	s_cbranch_vccnz .LBB7_1485
; %bb.1475:
	v_cmp_lt_i16_e32 vcc, 14, v57
	s_cbranch_vccz .LBB7_1478
; %bb.1476:
	v_cmp_eq_u16_e32 vcc, 15, v57
	s_cbranch_vccz .LBB7_1481
; %bb.1477:
	global_load_ushort v4, v[2:3], off
	s_mov_b64 s[4:5], 0
	s_mov_b64 s[8:9], -1
	s_waitcnt vmcnt(0)
	v_lshlrev_b32_e32 v4, 16, v4
	v_cvt_f64_f32_e32 v[46:47], v4
	s_branch .LBB7_1482
.LBB7_1478:
	s_mov_b64 s[10:11], -1
                                        ; implicit-def: $vgpr46_vgpr47
	s_branch .LBB7_1483
.LBB7_1479:
	s_or_saveexec_b64 s[10:11], s[10:11]
	v_pk_mov_b32 v[46:47], s[8:9], s[8:9] op_sel:[0,1]
	s_xor_b64 exec, exec, s[10:11]
	s_cbranch_execz .LBB7_1460
.LBB7_1480:
	v_cmp_ne_u16_e32 vcc, 0, v4
	s_andn2_b64 s[6:7], s[6:7], exec
	s_and_b64 s[8:9], vcc, exec
	v_pk_mov_b32 v[46:47], 0, 0
	s_or_b64 s[6:7], s[6:7], s[8:9]
	s_or_b64 exec, exec, s[10:11]
	s_and_saveexec_b64 s[8:9], s[6:7]
	s_cbranch_execnz .LBB7_1461
	s_branch .LBB7_1462
.LBB7_1481:
	s_mov_b64 s[4:5], -1
                                        ; implicit-def: $vgpr46_vgpr47
.LBB7_1482:
	s_mov_b64 s[10:11], 0
.LBB7_1483:
	s_and_b64 vcc, exec, s[10:11]
	s_cbranch_vccz .LBB7_1485
; %bb.1484:
	v_cmp_ne_u16_e64 s[4:5], 11, v57
	s_mov_b64 s[6:7], -1
                                        ; implicit-def: $vgpr46_vgpr47
.LBB7_1485:
	s_and_b64 vcc, exec, s[4:5]
	s_cbranch_vccnz .LBB7_1549
; %bb.1486:
	s_andn2_b64 vcc, exec, s[6:7]
	s_cbranch_vccnz .LBB7_1488
.LBB7_1487:
	global_load_ubyte v4, v[2:3], off
	v_mov_b32_e32 v5, 0x3ff00000
	v_mov_b32_e32 v46, 0
	s_mov_b64 s[8:9], -1
	s_waitcnt vmcnt(0)
	v_cmp_ne_u16_e32 vcc, 0, v4
	v_cndmask_b32_e32 v47, 0, v5, vcc
.LBB7_1488:
	s_mov_b64 s[4:5], 0
.LBB7_1489:
	s_and_b64 vcc, exec, s[4:5]
	s_cbranch_vccz .LBB7_1538
; %bb.1490:
	v_cmp_gt_i16_e32 vcc, 5, v57
	s_cbranch_vccnz .LBB7_1495
; %bb.1491:
	v_cmp_gt_i16_e32 vcc, 8, v57
	s_cbranch_vccnz .LBB7_1496
; %bb.1492:
	v_cmp_gt_i16_e32 vcc, 9, v57
	s_cbranch_vccnz .LBB7_1497
; %bb.1493:
	v_cmp_lt_i16_e32 vcc, 9, v57
	s_cbranch_vccz .LBB7_1498
; %bb.1494:
	global_load_dwordx2 v[46:47], v[2:3], off
	s_mov_b64 s[4:5], 0
	s_branch .LBB7_1499
.LBB7_1495:
	s_mov_b64 s[4:5], -1
                                        ; implicit-def: $vgpr46_vgpr47
	s_branch .LBB7_1517
.LBB7_1496:
	s_mov_b64 s[4:5], -1
                                        ; implicit-def: $vgpr46_vgpr47
	s_branch .LBB7_1505
.LBB7_1497:
	s_mov_b64 s[4:5], -1
                                        ; implicit-def: $vgpr46_vgpr47
	s_branch .LBB7_1502
.LBB7_1498:
	s_mov_b64 s[4:5], -1
                                        ; implicit-def: $vgpr46_vgpr47
.LBB7_1499:
	s_andn2_b64 vcc, exec, s[4:5]
	s_cbranch_vccnz .LBB7_1501
; %bb.1500:
	global_load_dword v4, v[2:3], off
	s_waitcnt vmcnt(0)
	v_cvt_f64_f32_e32 v[46:47], v4
.LBB7_1501:
	s_mov_b64 s[4:5], 0
.LBB7_1502:
	s_andn2_b64 vcc, exec, s[4:5]
	s_cbranch_vccnz .LBB7_1504
; %bb.1503:
	global_load_dword v4, v[2:3], off
	s_waitcnt vmcnt(0)
	v_cvt_f32_f16_e32 v4, v4
	v_cvt_f64_f32_e32 v[46:47], v4
.LBB7_1504:
	s_mov_b64 s[4:5], 0
.LBB7_1505:
	s_andn2_b64 vcc, exec, s[4:5]
	s_cbranch_vccnz .LBB7_1516
; %bb.1506:
	v_cmp_gt_i16_e32 vcc, 6, v57
	s_cbranch_vccnz .LBB7_1509
; %bb.1507:
	v_cmp_lt_i16_e32 vcc, 6, v57
	s_cbranch_vccz .LBB7_1510
; %bb.1508:
	global_load_dwordx2 v[46:47], v[2:3], off
	s_mov_b64 s[4:5], 0
	s_branch .LBB7_1511
.LBB7_1509:
	s_mov_b64 s[4:5], -1
                                        ; implicit-def: $vgpr46_vgpr47
	s_branch .LBB7_1514
.LBB7_1510:
	s_mov_b64 s[4:5], -1
                                        ; implicit-def: $vgpr46_vgpr47
.LBB7_1511:
	s_andn2_b64 vcc, exec, s[4:5]
	s_cbranch_vccnz .LBB7_1513
; %bb.1512:
	global_load_dword v4, v[2:3], off
	s_waitcnt vmcnt(0)
	v_cvt_f64_f32_e32 v[46:47], v4
.LBB7_1513:
	s_mov_b64 s[4:5], 0
.LBB7_1514:
	s_andn2_b64 vcc, exec, s[4:5]
	s_cbranch_vccnz .LBB7_1516
; %bb.1515:
	global_load_ushort v4, v[2:3], off
	s_waitcnt vmcnt(0)
	v_cvt_f32_f16_e32 v4, v4
	v_cvt_f64_f32_e32 v[46:47], v4
.LBB7_1516:
	s_mov_b64 s[4:5], 0
.LBB7_1517:
	s_andn2_b64 vcc, exec, s[4:5]
	s_cbranch_vccnz .LBB7_1537
; %bb.1518:
	v_cmp_gt_i16_e32 vcc, 2, v57
	s_cbranch_vccnz .LBB7_1522
; %bb.1519:
	v_cmp_gt_i16_e32 vcc, 3, v57
	s_cbranch_vccnz .LBB7_1523
; %bb.1520:
	v_cmp_lt_i16_e32 vcc, 3, v57
	s_cbranch_vccz .LBB7_1524
; %bb.1521:
	global_load_dwordx2 v[4:5], v[2:3], off
	s_mov_b64 s[4:5], 0
	s_waitcnt vmcnt(0)
	v_cvt_f64_i32_e32 v[6:7], v5
	v_cvt_f64_u32_e32 v[4:5], v4
	v_ldexp_f64 v[6:7], v[6:7], 32
	v_add_f64 v[46:47], v[6:7], v[4:5]
	s_branch .LBB7_1525
.LBB7_1522:
	s_mov_b64 s[4:5], -1
                                        ; implicit-def: $vgpr46_vgpr47
	s_branch .LBB7_1531
.LBB7_1523:
	s_mov_b64 s[4:5], -1
                                        ; implicit-def: $vgpr46_vgpr47
	s_branch .LBB7_1528
.LBB7_1524:
	s_mov_b64 s[4:5], -1
                                        ; implicit-def: $vgpr46_vgpr47
.LBB7_1525:
	s_andn2_b64 vcc, exec, s[4:5]
	s_cbranch_vccnz .LBB7_1527
; %bb.1526:
	global_load_dword v4, v[2:3], off
	s_waitcnt vmcnt(0)
	v_cvt_f64_i32_e32 v[46:47], v4
.LBB7_1527:
	s_mov_b64 s[4:5], 0
.LBB7_1528:
	s_andn2_b64 vcc, exec, s[4:5]
	s_cbranch_vccnz .LBB7_1530
; %bb.1529:
	global_load_sshort v4, v[2:3], off
	s_waitcnt vmcnt(0)
	v_cvt_f64_i32_e32 v[46:47], v4
.LBB7_1530:
	s_mov_b64 s[4:5], 0
.LBB7_1531:
	s_andn2_b64 vcc, exec, s[4:5]
	s_cbranch_vccnz .LBB7_1537
; %bb.1532:
	v_cmp_lt_i16_e32 vcc, 0, v57
	s_cbranch_vccz .LBB7_1534
; %bb.1533:
	global_load_sbyte v4, v[2:3], off
	s_mov_b64 s[4:5], 0
	s_waitcnt vmcnt(0)
	v_cvt_f64_i32_e32 v[46:47], v4
	s_branch .LBB7_1535
.LBB7_1534:
	s_mov_b64 s[4:5], -1
                                        ; implicit-def: $vgpr46_vgpr47
.LBB7_1535:
	s_andn2_b64 vcc, exec, s[4:5]
	s_cbranch_vccnz .LBB7_1537
; %bb.1536:
	global_load_ubyte v2, v[2:3], off
	s_waitcnt vmcnt(0)
	v_cvt_f64_u32_e32 v[46:47], v2
.LBB7_1537:
	s_mov_b64 s[8:9], -1
.LBB7_1538:
	s_andn2_b64 vcc, exec, s[8:9]
	s_cbranch_vccnz .LBB7_1992
; %bb.1539:
	s_getpc_b64 s[4:5]
	s_add_u32 s4, s4, _Z17bessel_j1_forwardIdET_S0_@rel32@lo+4
	s_addc_u32 s5, s5, _Z17bessel_j1_forwardIdET_S0_@rel32@hi+12
	s_swappc_b64 s[30:31], s[4:5]
	v_mul_lo_u32 v56, s40, v56
	v_ashrrev_i32_e32 v2, 31, v56
	v_mov_b32_e32 v3, s37
	v_add_co_u32_e32 v4, vcc, s36, v56
	v_addc_co_u32_e32 v5, vcc, v3, v2, vcc
	v_mov_b32_e32 v2, 11
	v_cmp_lt_i16_sdwa s[4:5], v41, v2 src0_sel:BYTE_0 src1_sel:DWORD
	s_and_b64 vcc, exec, s[4:5]
	s_cbranch_vccnz .LBB7_1546
; %bb.1540:
	v_mov_b32_e32 v2, 25
	v_cmp_gt_i16_sdwa s[4:5], v41, v2 src0_sel:BYTE_0 src1_sel:DWORD
	s_mov_b64 s[10:11], -1
	s_mov_b64 s[6:7], 0
	s_and_b64 vcc, exec, s[4:5]
	s_mov_b64 s[8:9], 0
	s_mov_b64 s[4:5], 0
	s_cbranch_vccz .LBB7_1578
; %bb.1541:
	v_mov_b32_e32 v2, 28
	v_cmp_gt_i16_sdwa s[4:5], v41, v2 src0_sel:BYTE_0 src1_sel:DWORD
	s_and_b64 vcc, exec, s[4:5]
	s_cbranch_vccz .LBB7_1547
; %bb.1542:
	v_mov_b32_e32 v2, 43
	v_cmp_gt_i16_sdwa s[4:5], v41, v2 src0_sel:BYTE_0 src1_sel:DWORD
	s_and_b64 vcc, exec, s[4:5]
	;; [unrolled: 5-line block ×3, first 2 shown]
	s_cbranch_vccz .LBB7_1550
; %bb.1544:
	v_mov_b32_e32 v2, 46
	v_cmp_eq_u16_sdwa s[8:9], v41, v2 src0_sel:BYTE_0 src1_sel:DWORD
	s_mov_b64 s[4:5], -1
	s_mov_b64 s[10:11], 0
	s_and_b64 vcc, exec, s[8:9]
	s_mov_b64 s[8:9], 0
	s_cbranch_vccz .LBB7_1551
; %bb.1545:
	v_cvt_f32_f64_e32 v2, v[0:1]
	v_bfe_u32 v3, v2, 16, 1
	s_movk_i32 s4, 0x7fff
	v_add3_u32 v3, v2, v3, s4
	v_lshrrev_b32_e32 v3, 16, v3
	v_mov_b32_e32 v6, 0x7fc0
	v_cmp_o_f32_e32 vcc, v2, v2
	v_cndmask_b32_e32 v2, v6, v3, vcc
	global_store_dword v[4:5], v2, off
	s_mov_b64 s[4:5], 0
	s_mov_b64 s[8:9], -1
	s_branch .LBB7_1551
.LBB7_1546:
	s_mov_b64 s[4:5], -1
	s_mov_b64 s[8:9], 0
	s_branch .LBB7_1622
.LBB7_1547:
	s_mov_b64 s[4:5], 0
	s_branch .LBB7_1561
.LBB7_1548:
	s_mov_b64 s[4:5], 0
	s_branch .LBB7_1557
.LBB7_1549:
	s_trap 2
	s_or_b64 s[48:49], s[48:49], exec
                                        ; implicit-def: $vgpr46_vgpr47
	s_cbranch_execz .LBB7_1487
	s_branch .LBB7_1488
.LBB7_1550:
	s_mov_b64 s[4:5], 0
.LBB7_1551:
	s_and_b64 vcc, exec, s[10:11]
	s_cbranch_vccz .LBB7_1556
; %bb.1552:
	v_mov_b32_e32 v2, 44
	v_cmp_eq_u16_sdwa s[10:11], v41, v2 src0_sel:BYTE_0 src1_sel:DWORD
	s_mov_b64 s[4:5], -1
	s_and_b64 vcc, exec, s[10:11]
	s_cbranch_vccz .LBB7_1556
; %bb.1553:
	v_cvt_f32_f64_e32 v2, v[0:1]
	v_bfe_u32 v3, v2, 23, 8
	s_movk_i32 s4, 0xff
	v_cmp_ne_u32_e32 vcc, s4, v3
	v_mov_b32_e32 v6, 0xff
	s_and_saveexec_b64 s[8:9], vcc
; %bb.1554:
	s_mov_b32 s4, 0x3fffff
	v_lshrrev_b32_e32 v6, 23, v2
	v_and_b32_e32 v7, 0x400000, v2
	v_and_or_b32 v2, v2, s4, v3
	v_cmp_ne_u32_e32 vcc, 0, v7
	v_cmp_ne_u32_e64 s[4:5], 0, v2
	s_and_b64 s[4:5], vcc, s[4:5]
	v_cndmask_b32_e64 v2, 0, 1, s[4:5]
	v_add_u32_e32 v6, v6, v2
; %bb.1555:
	s_or_b64 exec, exec, s[8:9]
	s_mov_b64 s[4:5], 0
	s_mov_b64 s[8:9], -1
	global_store_byte v[4:5], v6, off
.LBB7_1556:
	s_mov_b64 s[10:11], 0
.LBB7_1557:
	s_and_b64 vcc, exec, s[10:11]
	s_cbranch_vccz .LBB7_1560
; %bb.1558:
	v_mov_b32_e32 v2, 29
	v_cmp_eq_u16_sdwa s[10:11], v41, v2 src0_sel:BYTE_0 src1_sel:DWORD
	s_mov_b64 s[4:5], -1
	s_and_b64 vcc, exec, s[10:11]
	s_cbranch_vccz .LBB7_1560
; %bb.1559:
	v_trunc_f64_e32 v[2:3], v[0:1]
	s_movk_i32 s4, 0xffe0
	v_ldexp_f64 v[6:7], v[2:3], s4
	v_floor_f64_e32 v[6:7], v[6:7]
	v_fmac_f64_e32 v[2:3], 0xc1f00000, v[6:7]
	v_cvt_u32_f64_e32 v9, v[6:7]
	v_cvt_u32_f64_e32 v8, v[2:3]
	global_store_dwordx2 v[4:5], v[8:9], off
	s_mov_b64 s[4:5], 0
	s_mov_b64 s[8:9], -1
.LBB7_1560:
	s_mov_b64 s[10:11], 0
.LBB7_1561:
	s_and_b64 vcc, exec, s[10:11]
	s_cbranch_vccz .LBB7_1577
; %bb.1562:
	v_mov_b32_e32 v2, 27
	v_cmp_lt_i16_sdwa s[10:11], v41, v2 src0_sel:BYTE_0 src1_sel:DWORD
	s_mov_b64 s[8:9], -1
	s_and_b64 vcc, exec, s[10:11]
	s_cbranch_vccnz .LBB7_1568
; %bb.1563:
	v_cmp_gt_i16_sdwa s[10:11], v41, v2 src0_sel:BYTE_0 src1_sel:DWORD
	s_and_b64 vcc, exec, s[10:11]
	v_cvt_u32_f64_e32 v2, v[0:1]
	s_cbranch_vccz .LBB7_1565
; %bb.1564:
	s_mov_b64 s[8:9], 0
	global_store_dword v[4:5], v2, off
.LBB7_1565:
	s_andn2_b64 vcc, exec, s[8:9]
	s_cbranch_vccnz .LBB7_1567
; %bb.1566:
	global_store_short v[4:5], v2, off
.LBB7_1567:
	s_mov_b64 s[8:9], 0
.LBB7_1568:
	s_andn2_b64 vcc, exec, s[8:9]
	s_cbranch_vccnz .LBB7_1576
; %bb.1569:
	v_cvt_f32_f64_e32 v2, v[0:1]
	v_and_b32_e32 v3, 0x7fffffff, v2
	s_mov_b32 s8, 0x43800000
	v_cmp_gt_u32_e32 vcc, s8, v3
	v_mov_b32_e32 v6, 0x80
	s_and_saveexec_b64 s[8:9], vcc
	s_cbranch_execz .LBB7_1575
; %bb.1570:
	s_mov_b32 s10, 0x3bffffff
	v_cmp_lt_u32_e32 vcc, s10, v3
	s_mov_b64 s[10:11], 0
                                        ; implicit-def: $vgpr3
	s_and_saveexec_b64 s[12:13], vcc
	s_xor_b64 s[12:13], exec, s[12:13]
	s_cbranch_execz .LBB7_1671
; %bb.1571:
	v_bfe_u32 v3, v2, 20, 1
	s_mov_b32 s14, 0x487ffff
	v_add3_u32 v3, v2, v3, s14
	s_mov_b64 s[10:11], exec
	v_lshrrev_b32_e32 v3, 20, v3
	s_or_saveexec_b64 s[12:13], s[12:13]
                                        ; implicit-def: $sgpr14
	s_xor_b64 exec, exec, s[12:13]
	s_cbranch_execnz .LBB7_1672
.LBB7_1572:
	s_or_b64 exec, exec, s[12:13]
	v_mov_b32_e32 v6, s14
	s_and_saveexec_b64 s[12:13], s[10:11]
.LBB7_1573:
	v_lshrrev_b32_e32 v2, 24, v2
	s_movk_i32 s10, 0x80
	v_and_or_b32 v6, v2, s10, v3
.LBB7_1574:
	s_or_b64 exec, exec, s[12:13]
.LBB7_1575:
	s_or_b64 exec, exec, s[8:9]
	global_store_byte v[4:5], v6, off
.LBB7_1576:
	s_mov_b64 s[8:9], -1
.LBB7_1577:
	s_mov_b64 s[10:11], 0
.LBB7_1578:
	s_and_b64 vcc, exec, s[10:11]
	s_cbranch_vccz .LBB7_1618
; %bb.1579:
	v_mov_b32_e32 v2, 22
	v_cmp_gt_i16_sdwa s[10:11], v41, v2 src0_sel:BYTE_0 src1_sel:DWORD
	s_mov_b64 s[6:7], -1
	s_and_b64 vcc, exec, s[10:11]
	s_cbranch_vccz .LBB7_1611
; %bb.1580:
	v_mov_b32_e32 v2, 24
	v_cmp_lt_i16_sdwa s[8:9], v41, v2 src0_sel:BYTE_0 src1_sel:DWORD
	s_and_b64 vcc, exec, s[8:9]
	s_cbranch_vccnz .LBB7_1600
; %bb.1581:
	v_cmp_gt_i16_sdwa s[8:9], v41, v2 src0_sel:BYTE_0 src1_sel:DWORD
	s_and_b64 vcc, exec, s[8:9]
	s_cbranch_vccz .LBB7_1589
; %bb.1582:
	v_cvt_f32_f64_e32 v2, v[0:1]
	v_and_b32_e32 v3, 0x7fffffff, v2
	s_mov_b32 s6, 0x47800000
	v_cmp_gt_u32_e32 vcc, s6, v3
	v_mov_b32_e32 v6, 0x80
	s_and_saveexec_b64 s[6:7], vcc
	s_cbranch_execz .LBB7_1588
; %bb.1583:
	s_mov_b32 s8, 0x37ffffff
	v_cmp_lt_u32_e32 vcc, s8, v3
	s_mov_b64 s[8:9], 0
                                        ; implicit-def: $vgpr3
	s_and_saveexec_b64 s[10:11], vcc
	s_xor_b64 s[10:11], exec, s[10:11]
	s_cbranch_execz .LBB7_1675
; %bb.1584:
	v_bfe_u32 v3, v2, 21, 1
	s_mov_b32 s12, 0x88fffff
	v_add3_u32 v3, v2, v3, s12
	s_mov_b64 s[8:9], exec
	v_lshrrev_b32_e32 v3, 21, v3
	s_or_saveexec_b64 s[10:11], s[10:11]
                                        ; implicit-def: $sgpr12
	s_xor_b64 exec, exec, s[10:11]
	s_cbranch_execnz .LBB7_1676
.LBB7_1585:
	s_or_b64 exec, exec, s[10:11]
	v_mov_b32_e32 v6, s12
	s_and_saveexec_b64 s[10:11], s[8:9]
.LBB7_1586:
	v_lshrrev_b32_e32 v2, 24, v2
	s_movk_i32 s8, 0x80
	v_and_or_b32 v6, v2, s8, v3
.LBB7_1587:
	s_or_b64 exec, exec, s[10:11]
.LBB7_1588:
	s_or_b64 exec, exec, s[6:7]
	s_mov_b64 s[6:7], 0
	global_store_byte v[4:5], v6, off
.LBB7_1589:
	s_and_b64 vcc, exec, s[6:7]
	s_cbranch_vccz .LBB7_1599
; %bb.1590:
	v_cvt_f32_f64_e32 v2, v[0:1]
	v_and_b32_e32 v6, 0x7fffffff, v2
	s_mov_b32 s6, 0x43f00000
	v_cmp_gt_u32_e32 vcc, s6, v6
                                        ; implicit-def: $vgpr3
	s_and_saveexec_b64 s[6:7], vcc
	s_xor_b64 s[6:7], exec, s[6:7]
	s_cbranch_execz .LBB7_1596
; %bb.1591:
	s_mov_b32 s8, 0x3c7fffff
	v_cmp_lt_u32_e32 vcc, s8, v6
                                        ; implicit-def: $vgpr3
	s_and_saveexec_b64 s[8:9], vcc
	s_xor_b64 s[8:9], exec, s[8:9]
; %bb.1592:
	v_bfe_u32 v3, v2, 20, 1
	s_mov_b32 s10, 0x407ffff
	v_add3_u32 v3, v2, v3, s10
	v_lshrrev_b32_e32 v6, 20, v3
	v_and_b32_e32 v3, 0xff00000, v3
	s_mov_b32 s10, 0x7f00000
	v_mov_b32_e32 v7, 0x7e
	v_cmp_ne_u32_e32 vcc, s10, v3
	v_cndmask_b32_e32 v3, v7, v6, vcc
; %bb.1593:
	s_andn2_saveexec_b64 s[8:9], s[8:9]
; %bb.1594:
	s_mov_b32 s10, 0x46800000
	v_add_f32_e64 v3, |v2|, s10
; %bb.1595:
	s_or_b64 exec, exec, s[8:9]
                                        ; implicit-def: $vgpr6
.LBB7_1596:
	s_andn2_saveexec_b64 s[6:7], s[6:7]
; %bb.1597:
	s_mov_b32 s8, 0x7f800000
	v_mov_b32_e32 v3, 0x7e
	v_mov_b32_e32 v7, 0x7f
	v_cmp_lt_u32_e32 vcc, s8, v6
	v_cndmask_b32_e32 v3, v3, v7, vcc
; %bb.1598:
	s_or_b64 exec, exec, s[6:7]
	v_lshrrev_b32_e32 v2, 24, v2
	s_movk_i32 s6, 0x80
	v_and_or_b32 v2, v2, s6, v3
	global_store_byte v[4:5], v2, off
.LBB7_1599:
	s_mov_b64 s[6:7], 0
.LBB7_1600:
	s_andn2_b64 vcc, exec, s[6:7]
	s_cbranch_vccnz .LBB7_1610
; %bb.1601:
	v_cvt_f32_f64_e32 v2, v[0:1]
	v_and_b32_e32 v6, 0x7fffffff, v2
	s_mov_b32 s6, 0x47800000
	v_cmp_gt_u32_e32 vcc, s6, v6
                                        ; implicit-def: $vgpr3
	s_and_saveexec_b64 s[6:7], vcc
	s_xor_b64 s[6:7], exec, s[6:7]
	s_cbranch_execz .LBB7_1607
; %bb.1602:
	s_mov_b32 s8, 0x387fffff
	v_cmp_lt_u32_e32 vcc, s8, v6
                                        ; implicit-def: $vgpr3
	s_and_saveexec_b64 s[8:9], vcc
	s_xor_b64 s[8:9], exec, s[8:9]
; %bb.1603:
	v_bfe_u32 v3, v2, 21, 1
	s_mov_b32 s10, 0x80fffff
	v_add3_u32 v3, v2, v3, s10
	v_lshrrev_b32_e32 v3, 21, v3
; %bb.1604:
	s_andn2_saveexec_b64 s[8:9], s[8:9]
; %bb.1605:
	s_mov_b32 s10, 0x43000000
	v_add_f32_e64 v3, |v2|, s10
; %bb.1606:
	s_or_b64 exec, exec, s[8:9]
                                        ; implicit-def: $vgpr6
.LBB7_1607:
	s_andn2_saveexec_b64 s[6:7], s[6:7]
; %bb.1608:
	s_mov_b32 s8, 0x7f800000
	v_mov_b32_e32 v3, 0x7c
	v_mov_b32_e32 v7, 0x7f
	v_cmp_lt_u32_e32 vcc, s8, v6
	v_cndmask_b32_e32 v3, v3, v7, vcc
; %bb.1609:
	s_or_b64 exec, exec, s[6:7]
	v_lshrrev_b32_e32 v2, 24, v2
	s_movk_i32 s6, 0x80
	v_and_or_b32 v2, v2, s6, v3
	global_store_byte v[4:5], v2, off
.LBB7_1610:
	s_mov_b64 s[6:7], 0
	s_mov_b64 s[8:9], -1
.LBB7_1611:
	s_andn2_b64 vcc, exec, s[6:7]
	s_mov_b64 s[6:7], 0
	s_cbranch_vccnz .LBB7_1618
; %bb.1612:
	v_mov_b32_e32 v2, 14
	v_cmp_gt_i16_sdwa s[6:7], v41, v2 src0_sel:BYTE_0 src1_sel:DWORD
	s_mov_b64 s[10:11], -1
	s_and_b64 vcc, exec, s[6:7]
	s_cbranch_vccz .LBB7_1616
; %bb.1613:
	v_mov_b32_e32 v2, 15
	v_cmp_eq_u16_sdwa s[6:7], v41, v2 src0_sel:BYTE_0 src1_sel:DWORD
	s_mov_b64 s[4:5], -1
	s_and_b64 vcc, exec, s[6:7]
	s_cbranch_vccz .LBB7_1615
; %bb.1614:
	v_cvt_f32_f64_e32 v2, v[0:1]
	v_bfe_u32 v3, v2, 16, 1
	s_movk_i32 s4, 0x7fff
	v_add3_u32 v3, v2, v3, s4
	v_lshrrev_b32_e32 v3, 16, v3
	v_mov_b32_e32 v6, 0x7fc0
	v_cmp_o_f32_e32 vcc, v2, v2
	v_cndmask_b32_e32 v2, v6, v3, vcc
	global_store_short v[4:5], v2, off
	s_mov_b64 s[4:5], 0
	s_mov_b64 s[8:9], -1
.LBB7_1615:
	s_mov_b64 s[10:11], 0
.LBB7_1616:
	s_mov_b64 s[6:7], 0
	s_and_b64 vcc, exec, s[10:11]
	s_cbranch_vccz .LBB7_1618
; %bb.1617:
	v_mov_b32_e32 v2, 11
	v_cmp_ne_u16_sdwa s[4:5], v41, v2 src0_sel:BYTE_0 src1_sel:DWORD
	s_mov_b64 s[6:7], -1
.LBB7_1618:
	s_and_b64 vcc, exec, s[4:5]
	s_cbranch_vccnz .LBB7_1674
; %bb.1619:
	s_andn2_b64 vcc, exec, s[6:7]
	s_cbranch_vccnz .LBB7_1621
.LBB7_1620:
	v_cmp_neq_f64_e32 vcc, 0, v[0:1]
	v_cndmask_b32_e64 v2, 0, 1, vcc
	s_mov_b64 s[8:9], -1
	global_store_byte v[4:5], v2, off
.LBB7_1621:
	s_mov_b64 s[4:5], 0
.LBB7_1622:
	s_and_b64 vcc, exec, s[4:5]
	s_cbranch_vccz .LBB7_1661
; %bb.1623:
	v_mov_b32_e32 v2, 5
	v_cmp_lt_i16_sdwa s[6:7], v41, v2 src0_sel:BYTE_0 src1_sel:DWORD
	s_mov_b64 s[4:5], -1
	s_and_b64 vcc, exec, s[6:7]
	s_cbranch_vccnz .LBB7_1644
; %bb.1624:
	v_mov_b32_e32 v2, 8
	v_cmp_lt_i16_sdwa s[6:7], v41, v2 src0_sel:BYTE_0 src1_sel:DWORD
	s_and_b64 vcc, exec, s[6:7]
	s_cbranch_vccnz .LBB7_1634
; %bb.1625:
	v_mov_b32_e32 v2, 9
	v_cmp_lt_i16_sdwa s[6:7], v41, v2 src0_sel:BYTE_0 src1_sel:DWORD
	s_and_b64 vcc, exec, s[6:7]
	s_cbranch_vccnz .LBB7_1631
; %bb.1626:
	v_cmp_gt_i16_sdwa s[6:7], v41, v2 src0_sel:BYTE_0 src1_sel:DWORD
	s_and_b64 vcc, exec, s[6:7]
	s_cbranch_vccz .LBB7_1628
; %bb.1627:
	v_mov_b32_e32 v2, 0
	v_mov_b32_e32 v3, v2
	global_store_dwordx4 v[4:5], v[0:3], off
	s_mov_b64 s[4:5], 0
.LBB7_1628:
	s_andn2_b64 vcc, exec, s[4:5]
	s_cbranch_vccnz .LBB7_1630
; %bb.1629:
	v_cvt_f32_f64_e32 v2, v[0:1]
	v_mov_b32_e32 v3, 0
	global_store_dwordx2 v[4:5], v[2:3], off
.LBB7_1630:
	s_mov_b64 s[4:5], 0
.LBB7_1631:
	s_andn2_b64 vcc, exec, s[4:5]
	s_cbranch_vccnz .LBB7_1633
; %bb.1632:
	v_cvt_f32_f64_e32 v2, v[0:1]
	v_cvt_f16_f32_e32 v2, v2
	global_store_dword v[4:5], v2, off
.LBB7_1633:
	s_mov_b64 s[4:5], 0
.LBB7_1634:
	s_andn2_b64 vcc, exec, s[4:5]
	s_cbranch_vccnz .LBB7_1643
; %bb.1635:
	v_mov_b32_e32 v2, 6
	v_cmp_lt_i16_sdwa s[6:7], v41, v2 src0_sel:BYTE_0 src1_sel:DWORD
	s_mov_b64 s[4:5], -1
	s_and_b64 vcc, exec, s[6:7]
	s_cbranch_vccnz .LBB7_1641
; %bb.1636:
	v_cmp_gt_i16_sdwa s[6:7], v41, v2 src0_sel:BYTE_0 src1_sel:DWORD
	s_and_b64 vcc, exec, s[6:7]
	s_cbranch_vccz .LBB7_1638
; %bb.1637:
	global_store_dwordx2 v[4:5], v[0:1], off
	s_mov_b64 s[4:5], 0
.LBB7_1638:
	s_andn2_b64 vcc, exec, s[4:5]
	s_cbranch_vccnz .LBB7_1640
; %bb.1639:
	v_cvt_f32_f64_e32 v2, v[0:1]
	global_store_dword v[4:5], v2, off
.LBB7_1640:
	s_mov_b64 s[4:5], 0
.LBB7_1641:
	s_andn2_b64 vcc, exec, s[4:5]
	s_cbranch_vccnz .LBB7_1643
; %bb.1642:
	v_cvt_f32_f64_e32 v2, v[0:1]
	v_cvt_f16_f32_e32 v2, v2
	global_store_short v[4:5], v2, off
.LBB7_1643:
	s_mov_b64 s[4:5], 0
.LBB7_1644:
	s_andn2_b64 vcc, exec, s[4:5]
	s_cbranch_vccnz .LBB7_1660
; %bb.1645:
	v_mov_b32_e32 v2, 2
	v_cmp_lt_i16_sdwa s[6:7], v41, v2 src0_sel:BYTE_0 src1_sel:DWORD
	s_mov_b64 s[4:5], -1
	s_and_b64 vcc, exec, s[6:7]
	s_cbranch_vccnz .LBB7_1655
; %bb.1646:
	v_mov_b32_e32 v2, 3
	v_cmp_lt_i16_sdwa s[6:7], v41, v2 src0_sel:BYTE_0 src1_sel:DWORD
	s_and_b64 vcc, exec, s[6:7]
	s_cbranch_vccnz .LBB7_1652
; %bb.1647:
	v_cmp_gt_i16_sdwa s[6:7], v41, v2 src0_sel:BYTE_0 src1_sel:DWORD
	s_and_b64 vcc, exec, s[6:7]
	s_cbranch_vccz .LBB7_1649
; %bb.1648:
	v_trunc_f64_e32 v[2:3], v[0:1]
	s_movk_i32 s4, 0xffe0
	v_ldexp_f64 v[6:7], v[2:3], s4
	v_floor_f64_e32 v[6:7], v[6:7]
	v_fmac_f64_e32 v[2:3], 0xc1f00000, v[6:7]
	v_cvt_i32_f64_e32 v9, v[6:7]
	v_cvt_u32_f64_e32 v8, v[2:3]
	global_store_dwordx2 v[4:5], v[8:9], off
	s_mov_b64 s[4:5], 0
.LBB7_1649:
	s_andn2_b64 vcc, exec, s[4:5]
	s_cbranch_vccnz .LBB7_1651
; %bb.1650:
	v_cvt_i32_f64_e32 v2, v[0:1]
	global_store_dword v[4:5], v2, off
.LBB7_1651:
	s_mov_b64 s[4:5], 0
.LBB7_1652:
	s_andn2_b64 vcc, exec, s[4:5]
	s_cbranch_vccnz .LBB7_1654
; %bb.1653:
	v_cvt_i32_f64_e32 v2, v[0:1]
	global_store_short v[4:5], v2, off
.LBB7_1654:
	s_mov_b64 s[4:5], 0
.LBB7_1655:
	s_andn2_b64 vcc, exec, s[4:5]
	s_cbranch_vccnz .LBB7_1660
; %bb.1656:
	v_mov_b32_e32 v2, 0
	v_cmp_gt_i16_sdwa s[6:7], v41, v2 src0_sel:BYTE_0 src1_sel:DWORD
	s_mov_b64 s[4:5], -1
	s_and_b64 vcc, exec, s[6:7]
	s_cbranch_vccz .LBB7_1658
; %bb.1657:
	v_cvt_i32_f64_e32 v2, v[0:1]
	global_store_byte v[4:5], v2, off
	s_mov_b64 s[4:5], 0
.LBB7_1658:
	s_andn2_b64 vcc, exec, s[4:5]
	s_cbranch_vccnz .LBB7_1660
; %bb.1659:
	v_trunc_f64_e32 v[0:1], v[0:1]
	s_movk_i32 s4, 0xffe0
	v_ldexp_f64 v[2:3], v[0:1], s4
	v_floor_f64_e32 v[2:3], v[2:3]
	v_fmac_f64_e32 v[0:1], 0xc1f00000, v[2:3]
	v_cvt_u32_f64_e32 v0, v[0:1]
	global_store_byte v[4:5], v0, off
.LBB7_1660:
	s_mov_b64 s[8:9], -1
.LBB7_1661:
	s_andn2_b64 vcc, exec, s[8:9]
	s_cbranch_vccnz .LBB7_1992
; %bb.1662:
	v_mov_b32_e32 v0, v42
	v_mov_b32_e32 v1, v43
	s_getpc_b64 s[4:5]
	s_add_u32 s4, s4, _Z17bessel_j1_forwardIdET_S0_@rel32@lo+4
	s_addc_u32 s5, s5, _Z17bessel_j1_forwardIdET_S0_@rel32@hi+12
	s_swappc_b64 s[30:31], s[4:5]
	s_lshl_b32 s38, s40, 7
	v_add_u32_e32 v42, s38, v56
	v_ashrrev_i32_e32 v2, 31, v42
	v_mov_b32_e32 v3, s37
	v_add_co_u32_e32 v4, vcc, s36, v42
	v_addc_co_u32_e32 v5, vcc, v3, v2, vcc
	v_mov_b32_e32 v2, 11
	v_cmp_lt_i16_sdwa s[4:5], v41, v2 src0_sel:BYTE_0 src1_sel:DWORD
	s_and_b64 vcc, exec, s[4:5]
	s_cbranch_vccnz .LBB7_1669
; %bb.1663:
	v_mov_b32_e32 v2, 25
	v_cmp_gt_i16_sdwa s[4:5], v41, v2 src0_sel:BYTE_0 src1_sel:DWORD
	s_mov_b64 s[10:11], -1
	s_mov_b64 s[6:7], 0
	s_and_b64 vcc, exec, s[4:5]
	s_mov_b64 s[8:9], 0
	s_mov_b64 s[4:5], 0
	s_cbranch_vccz .LBB7_1705
; %bb.1664:
	v_mov_b32_e32 v2, 28
	v_cmp_gt_i16_sdwa s[4:5], v41, v2 src0_sel:BYTE_0 src1_sel:DWORD
	s_and_b64 vcc, exec, s[4:5]
	s_cbranch_vccz .LBB7_1670
; %bb.1665:
	v_mov_b32_e32 v2, 43
	v_cmp_gt_i16_sdwa s[4:5], v41, v2 src0_sel:BYTE_0 src1_sel:DWORD
	s_and_b64 vcc, exec, s[4:5]
	;; [unrolled: 5-line block ×3, first 2 shown]
	s_cbranch_vccz .LBB7_1677
; %bb.1667:
	v_mov_b32_e32 v2, 46
	v_cmp_eq_u16_sdwa s[8:9], v41, v2 src0_sel:BYTE_0 src1_sel:DWORD
	s_mov_b64 s[4:5], -1
	s_mov_b64 s[10:11], 0
	s_and_b64 vcc, exec, s[8:9]
	s_mov_b64 s[8:9], 0
	s_cbranch_vccz .LBB7_1678
; %bb.1668:
	v_cvt_f32_f64_e32 v2, v[0:1]
	v_bfe_u32 v3, v2, 16, 1
	s_movk_i32 s4, 0x7fff
	v_add3_u32 v3, v2, v3, s4
	v_lshrrev_b32_e32 v3, 16, v3
	v_mov_b32_e32 v6, 0x7fc0
	v_cmp_o_f32_e32 vcc, v2, v2
	v_cndmask_b32_e32 v2, v6, v3, vcc
	global_store_dword v[4:5], v2, off
	s_mov_b64 s[4:5], 0
	s_mov_b64 s[8:9], -1
	s_branch .LBB7_1678
.LBB7_1669:
	s_mov_b64 s[4:5], -1
	s_mov_b64 s[8:9], 0
	s_branch .LBB7_1749
.LBB7_1670:
	s_mov_b64 s[4:5], 0
	s_branch .LBB7_1688
.LBB7_1671:
	s_or_saveexec_b64 s[12:13], s[12:13]
                                        ; implicit-def: $sgpr14
	s_xor_b64 exec, exec, s[12:13]
	s_cbranch_execz .LBB7_1572
.LBB7_1672:
	s_mov_b32 s14, 0x46000000
	v_add_f32_e64 v3, |v2|, s14
	v_and_b32_e32 v3, 0xff, v3
	v_cmp_ne_u32_e32 vcc, 0, v3
	s_andn2_b64 s[10:11], s[10:11], exec
	s_and_b64 s[16:17], vcc, exec
	s_mov_b32 s14, 0
	s_or_b64 s[10:11], s[10:11], s[16:17]
	s_or_b64 exec, exec, s[12:13]
	v_mov_b32_e32 v6, s14
	s_and_saveexec_b64 s[12:13], s[10:11]
	s_cbranch_execnz .LBB7_1573
	s_branch .LBB7_1574
.LBB7_1673:
	s_mov_b64 s[4:5], 0
	s_branch .LBB7_1684
.LBB7_1674:
	s_trap 2
	s_or_b64 s[48:49], s[48:49], exec
	s_cbranch_execz .LBB7_1620
	s_branch .LBB7_1621
.LBB7_1675:
	s_or_saveexec_b64 s[10:11], s[10:11]
                                        ; implicit-def: $sgpr12
	s_xor_b64 exec, exec, s[10:11]
	s_cbranch_execz .LBB7_1585
.LBB7_1676:
	s_mov_b32 s12, 0x42800000
	v_add_f32_e64 v3, |v2|, s12
	v_and_b32_e32 v3, 0xff, v3
	v_cmp_ne_u32_e32 vcc, 0, v3
	s_andn2_b64 s[8:9], s[8:9], exec
	s_and_b64 s[14:15], vcc, exec
	s_mov_b32 s12, 0
	s_or_b64 s[8:9], s[8:9], s[14:15]
	s_or_b64 exec, exec, s[10:11]
	v_mov_b32_e32 v6, s12
	s_and_saveexec_b64 s[10:11], s[8:9]
	s_cbranch_execnz .LBB7_1586
	s_branch .LBB7_1587
.LBB7_1677:
	s_mov_b64 s[4:5], 0
.LBB7_1678:
	s_and_b64 vcc, exec, s[10:11]
	s_cbranch_vccz .LBB7_1683
; %bb.1679:
	v_mov_b32_e32 v2, 44
	v_cmp_eq_u16_sdwa s[10:11], v41, v2 src0_sel:BYTE_0 src1_sel:DWORD
	s_mov_b64 s[4:5], -1
	s_and_b64 vcc, exec, s[10:11]
	s_cbranch_vccz .LBB7_1683
; %bb.1680:
	v_cvt_f32_f64_e32 v2, v[0:1]
	v_bfe_u32 v3, v2, 23, 8
	s_movk_i32 s4, 0xff
	v_cmp_ne_u32_e32 vcc, s4, v3
	v_mov_b32_e32 v6, 0xff
	s_and_saveexec_b64 s[8:9], vcc
; %bb.1681:
	s_mov_b32 s4, 0x3fffff
	v_lshrrev_b32_e32 v6, 23, v2
	v_and_b32_e32 v7, 0x400000, v2
	v_and_or_b32 v2, v2, s4, v3
	v_cmp_ne_u32_e32 vcc, 0, v7
	v_cmp_ne_u32_e64 s[4:5], 0, v2
	s_and_b64 s[4:5], vcc, s[4:5]
	v_cndmask_b32_e64 v2, 0, 1, s[4:5]
	v_add_u32_e32 v6, v6, v2
; %bb.1682:
	s_or_b64 exec, exec, s[8:9]
	s_mov_b64 s[4:5], 0
	s_mov_b64 s[8:9], -1
	global_store_byte v[4:5], v6, off
.LBB7_1683:
	s_mov_b64 s[10:11], 0
.LBB7_1684:
	s_and_b64 vcc, exec, s[10:11]
	s_cbranch_vccz .LBB7_1687
; %bb.1685:
	v_mov_b32_e32 v2, 29
	v_cmp_eq_u16_sdwa s[10:11], v41, v2 src0_sel:BYTE_0 src1_sel:DWORD
	s_mov_b64 s[4:5], -1
	s_and_b64 vcc, exec, s[10:11]
	s_cbranch_vccz .LBB7_1687
; %bb.1686:
	v_trunc_f64_e32 v[2:3], v[0:1]
	s_movk_i32 s4, 0xffe0
	v_ldexp_f64 v[6:7], v[2:3], s4
	v_floor_f64_e32 v[6:7], v[6:7]
	v_fmac_f64_e32 v[2:3], 0xc1f00000, v[6:7]
	v_cvt_u32_f64_e32 v9, v[6:7]
	v_cvt_u32_f64_e32 v8, v[2:3]
	global_store_dwordx2 v[4:5], v[8:9], off
	s_mov_b64 s[4:5], 0
	s_mov_b64 s[8:9], -1
.LBB7_1687:
	s_mov_b64 s[10:11], 0
.LBB7_1688:
	s_and_b64 vcc, exec, s[10:11]
	s_cbranch_vccz .LBB7_1704
; %bb.1689:
	v_mov_b32_e32 v2, 27
	v_cmp_lt_i16_sdwa s[10:11], v41, v2 src0_sel:BYTE_0 src1_sel:DWORD
	s_mov_b64 s[8:9], -1
	s_and_b64 vcc, exec, s[10:11]
	s_cbranch_vccnz .LBB7_1695
; %bb.1690:
	v_cmp_gt_i16_sdwa s[10:11], v41, v2 src0_sel:BYTE_0 src1_sel:DWORD
	s_and_b64 vcc, exec, s[10:11]
	v_cvt_u32_f64_e32 v2, v[0:1]
	s_cbranch_vccz .LBB7_1692
; %bb.1691:
	s_mov_b64 s[8:9], 0
	global_store_dword v[4:5], v2, off
.LBB7_1692:
	s_andn2_b64 vcc, exec, s[8:9]
	s_cbranch_vccnz .LBB7_1694
; %bb.1693:
	global_store_short v[4:5], v2, off
.LBB7_1694:
	s_mov_b64 s[8:9], 0
.LBB7_1695:
	s_andn2_b64 vcc, exec, s[8:9]
	s_cbranch_vccnz .LBB7_1703
; %bb.1696:
	v_cvt_f32_f64_e32 v2, v[0:1]
	v_and_b32_e32 v3, 0x7fffffff, v2
	s_mov_b32 s8, 0x43800000
	v_cmp_gt_u32_e32 vcc, s8, v3
	v_mov_b32_e32 v6, 0x80
	s_and_saveexec_b64 s[8:9], vcc
	s_cbranch_execz .LBB7_1702
; %bb.1697:
	s_mov_b32 s10, 0x3bffffff
	v_cmp_lt_u32_e32 vcc, s10, v3
	s_mov_b64 s[10:11], 0
                                        ; implicit-def: $vgpr3
	s_and_saveexec_b64 s[12:13], vcc
	s_xor_b64 s[12:13], exec, s[12:13]
	s_cbranch_execz .LBB7_1798
; %bb.1698:
	v_bfe_u32 v3, v2, 20, 1
	s_mov_b32 s14, 0x487ffff
	v_add3_u32 v3, v2, v3, s14
	s_mov_b64 s[10:11], exec
	v_lshrrev_b32_e32 v3, 20, v3
	s_or_saveexec_b64 s[12:13], s[12:13]
                                        ; implicit-def: $sgpr14
	s_xor_b64 exec, exec, s[12:13]
	s_cbranch_execnz .LBB7_1799
.LBB7_1699:
	s_or_b64 exec, exec, s[12:13]
	v_mov_b32_e32 v6, s14
	s_and_saveexec_b64 s[12:13], s[10:11]
.LBB7_1700:
	v_lshrrev_b32_e32 v2, 24, v2
	s_movk_i32 s10, 0x80
	v_and_or_b32 v6, v2, s10, v3
.LBB7_1701:
	s_or_b64 exec, exec, s[12:13]
.LBB7_1702:
	s_or_b64 exec, exec, s[8:9]
	global_store_byte v[4:5], v6, off
.LBB7_1703:
	s_mov_b64 s[8:9], -1
.LBB7_1704:
	s_mov_b64 s[10:11], 0
.LBB7_1705:
	s_and_b64 vcc, exec, s[10:11]
	s_cbranch_vccz .LBB7_1745
; %bb.1706:
	v_mov_b32_e32 v2, 22
	v_cmp_gt_i16_sdwa s[10:11], v41, v2 src0_sel:BYTE_0 src1_sel:DWORD
	s_mov_b64 s[6:7], -1
	s_and_b64 vcc, exec, s[10:11]
	s_cbranch_vccz .LBB7_1738
; %bb.1707:
	v_mov_b32_e32 v2, 24
	v_cmp_lt_i16_sdwa s[8:9], v41, v2 src0_sel:BYTE_0 src1_sel:DWORD
	s_and_b64 vcc, exec, s[8:9]
	s_cbranch_vccnz .LBB7_1727
; %bb.1708:
	v_cmp_gt_i16_sdwa s[8:9], v41, v2 src0_sel:BYTE_0 src1_sel:DWORD
	s_and_b64 vcc, exec, s[8:9]
	s_cbranch_vccz .LBB7_1716
; %bb.1709:
	v_cvt_f32_f64_e32 v2, v[0:1]
	v_and_b32_e32 v3, 0x7fffffff, v2
	s_mov_b32 s6, 0x47800000
	v_cmp_gt_u32_e32 vcc, s6, v3
	v_mov_b32_e32 v6, 0x80
	s_and_saveexec_b64 s[6:7], vcc
	s_cbranch_execz .LBB7_1715
; %bb.1710:
	s_mov_b32 s8, 0x37ffffff
	v_cmp_lt_u32_e32 vcc, s8, v3
	s_mov_b64 s[8:9], 0
                                        ; implicit-def: $vgpr3
	s_and_saveexec_b64 s[10:11], vcc
	s_xor_b64 s[10:11], exec, s[10:11]
	s_cbranch_execz .LBB7_1802
; %bb.1711:
	v_bfe_u32 v3, v2, 21, 1
	s_mov_b32 s12, 0x88fffff
	v_add3_u32 v3, v2, v3, s12
	s_mov_b64 s[8:9], exec
	v_lshrrev_b32_e32 v3, 21, v3
	s_or_saveexec_b64 s[10:11], s[10:11]
                                        ; implicit-def: $sgpr12
	s_xor_b64 exec, exec, s[10:11]
	s_cbranch_execnz .LBB7_1803
.LBB7_1712:
	s_or_b64 exec, exec, s[10:11]
	v_mov_b32_e32 v6, s12
	s_and_saveexec_b64 s[10:11], s[8:9]
.LBB7_1713:
	v_lshrrev_b32_e32 v2, 24, v2
	s_movk_i32 s8, 0x80
	v_and_or_b32 v6, v2, s8, v3
.LBB7_1714:
	s_or_b64 exec, exec, s[10:11]
.LBB7_1715:
	s_or_b64 exec, exec, s[6:7]
	s_mov_b64 s[6:7], 0
	global_store_byte v[4:5], v6, off
.LBB7_1716:
	s_and_b64 vcc, exec, s[6:7]
	s_cbranch_vccz .LBB7_1726
; %bb.1717:
	v_cvt_f32_f64_e32 v2, v[0:1]
	v_and_b32_e32 v6, 0x7fffffff, v2
	s_mov_b32 s6, 0x43f00000
	v_cmp_gt_u32_e32 vcc, s6, v6
                                        ; implicit-def: $vgpr3
	s_and_saveexec_b64 s[6:7], vcc
	s_xor_b64 s[6:7], exec, s[6:7]
	s_cbranch_execz .LBB7_1723
; %bb.1718:
	s_mov_b32 s8, 0x3c7fffff
	v_cmp_lt_u32_e32 vcc, s8, v6
                                        ; implicit-def: $vgpr3
	s_and_saveexec_b64 s[8:9], vcc
	s_xor_b64 s[8:9], exec, s[8:9]
; %bb.1719:
	v_bfe_u32 v3, v2, 20, 1
	s_mov_b32 s10, 0x407ffff
	v_add3_u32 v3, v2, v3, s10
	v_lshrrev_b32_e32 v6, 20, v3
	v_and_b32_e32 v3, 0xff00000, v3
	s_mov_b32 s10, 0x7f00000
	v_mov_b32_e32 v7, 0x7e
	v_cmp_ne_u32_e32 vcc, s10, v3
	v_cndmask_b32_e32 v3, v7, v6, vcc
; %bb.1720:
	s_andn2_saveexec_b64 s[8:9], s[8:9]
; %bb.1721:
	s_mov_b32 s10, 0x46800000
	v_add_f32_e64 v3, |v2|, s10
; %bb.1722:
	s_or_b64 exec, exec, s[8:9]
                                        ; implicit-def: $vgpr6
.LBB7_1723:
	s_andn2_saveexec_b64 s[6:7], s[6:7]
; %bb.1724:
	s_mov_b32 s8, 0x7f800000
	v_mov_b32_e32 v3, 0x7e
	v_mov_b32_e32 v7, 0x7f
	v_cmp_lt_u32_e32 vcc, s8, v6
	v_cndmask_b32_e32 v3, v3, v7, vcc
; %bb.1725:
	s_or_b64 exec, exec, s[6:7]
	v_lshrrev_b32_e32 v2, 24, v2
	s_movk_i32 s6, 0x80
	v_and_or_b32 v2, v2, s6, v3
	global_store_byte v[4:5], v2, off
.LBB7_1726:
	s_mov_b64 s[6:7], 0
.LBB7_1727:
	s_andn2_b64 vcc, exec, s[6:7]
	s_cbranch_vccnz .LBB7_1737
; %bb.1728:
	v_cvt_f32_f64_e32 v2, v[0:1]
	v_and_b32_e32 v6, 0x7fffffff, v2
	s_mov_b32 s6, 0x47800000
	v_cmp_gt_u32_e32 vcc, s6, v6
                                        ; implicit-def: $vgpr3
	s_and_saveexec_b64 s[6:7], vcc
	s_xor_b64 s[6:7], exec, s[6:7]
	s_cbranch_execz .LBB7_1734
; %bb.1729:
	s_mov_b32 s8, 0x387fffff
	v_cmp_lt_u32_e32 vcc, s8, v6
                                        ; implicit-def: $vgpr3
	s_and_saveexec_b64 s[8:9], vcc
	s_xor_b64 s[8:9], exec, s[8:9]
; %bb.1730:
	v_bfe_u32 v3, v2, 21, 1
	s_mov_b32 s10, 0x80fffff
	v_add3_u32 v3, v2, v3, s10
	v_lshrrev_b32_e32 v3, 21, v3
; %bb.1731:
	s_andn2_saveexec_b64 s[8:9], s[8:9]
; %bb.1732:
	s_mov_b32 s10, 0x43000000
	v_add_f32_e64 v3, |v2|, s10
; %bb.1733:
	s_or_b64 exec, exec, s[8:9]
                                        ; implicit-def: $vgpr6
.LBB7_1734:
	s_andn2_saveexec_b64 s[6:7], s[6:7]
; %bb.1735:
	s_mov_b32 s8, 0x7f800000
	v_mov_b32_e32 v3, 0x7c
	v_mov_b32_e32 v7, 0x7f
	v_cmp_lt_u32_e32 vcc, s8, v6
	v_cndmask_b32_e32 v3, v3, v7, vcc
; %bb.1736:
	s_or_b64 exec, exec, s[6:7]
	v_lshrrev_b32_e32 v2, 24, v2
	s_movk_i32 s6, 0x80
	v_and_or_b32 v2, v2, s6, v3
	global_store_byte v[4:5], v2, off
.LBB7_1737:
	s_mov_b64 s[6:7], 0
	s_mov_b64 s[8:9], -1
.LBB7_1738:
	s_andn2_b64 vcc, exec, s[6:7]
	s_mov_b64 s[6:7], 0
	s_cbranch_vccnz .LBB7_1745
; %bb.1739:
	v_mov_b32_e32 v2, 14
	v_cmp_gt_i16_sdwa s[6:7], v41, v2 src0_sel:BYTE_0 src1_sel:DWORD
	s_mov_b64 s[10:11], -1
	s_and_b64 vcc, exec, s[6:7]
	s_cbranch_vccz .LBB7_1743
; %bb.1740:
	v_mov_b32_e32 v2, 15
	v_cmp_eq_u16_sdwa s[6:7], v41, v2 src0_sel:BYTE_0 src1_sel:DWORD
	s_mov_b64 s[4:5], -1
	s_and_b64 vcc, exec, s[6:7]
	s_cbranch_vccz .LBB7_1742
; %bb.1741:
	v_cvt_f32_f64_e32 v2, v[0:1]
	v_bfe_u32 v3, v2, 16, 1
	s_movk_i32 s4, 0x7fff
	v_add3_u32 v3, v2, v3, s4
	v_lshrrev_b32_e32 v3, 16, v3
	v_mov_b32_e32 v6, 0x7fc0
	v_cmp_o_f32_e32 vcc, v2, v2
	v_cndmask_b32_e32 v2, v6, v3, vcc
	global_store_short v[4:5], v2, off
	s_mov_b64 s[4:5], 0
	s_mov_b64 s[8:9], -1
.LBB7_1742:
	s_mov_b64 s[10:11], 0
.LBB7_1743:
	s_mov_b64 s[6:7], 0
	s_and_b64 vcc, exec, s[10:11]
	s_cbranch_vccz .LBB7_1745
; %bb.1744:
	v_mov_b32_e32 v2, 11
	v_cmp_ne_u16_sdwa s[4:5], v41, v2 src0_sel:BYTE_0 src1_sel:DWORD
	s_mov_b64 s[6:7], -1
.LBB7_1745:
	s_and_b64 vcc, exec, s[4:5]
	s_cbranch_vccnz .LBB7_1801
; %bb.1746:
	s_andn2_b64 vcc, exec, s[6:7]
	s_cbranch_vccnz .LBB7_1748
.LBB7_1747:
	v_cmp_neq_f64_e32 vcc, 0, v[0:1]
	v_cndmask_b32_e64 v2, 0, 1, vcc
	s_mov_b64 s[8:9], -1
	global_store_byte v[4:5], v2, off
.LBB7_1748:
	s_mov_b64 s[4:5], 0
.LBB7_1749:
	s_and_b64 vcc, exec, s[4:5]
	s_cbranch_vccz .LBB7_1788
; %bb.1750:
	v_mov_b32_e32 v2, 5
	v_cmp_lt_i16_sdwa s[6:7], v41, v2 src0_sel:BYTE_0 src1_sel:DWORD
	s_mov_b64 s[4:5], -1
	s_and_b64 vcc, exec, s[6:7]
	s_cbranch_vccnz .LBB7_1771
; %bb.1751:
	v_mov_b32_e32 v2, 8
	v_cmp_lt_i16_sdwa s[6:7], v41, v2 src0_sel:BYTE_0 src1_sel:DWORD
	s_and_b64 vcc, exec, s[6:7]
	s_cbranch_vccnz .LBB7_1761
; %bb.1752:
	v_mov_b32_e32 v2, 9
	v_cmp_lt_i16_sdwa s[6:7], v41, v2 src0_sel:BYTE_0 src1_sel:DWORD
	s_and_b64 vcc, exec, s[6:7]
	s_cbranch_vccnz .LBB7_1758
; %bb.1753:
	v_cmp_gt_i16_sdwa s[6:7], v41, v2 src0_sel:BYTE_0 src1_sel:DWORD
	s_and_b64 vcc, exec, s[6:7]
	s_cbranch_vccz .LBB7_1755
; %bb.1754:
	v_mov_b32_e32 v2, 0
	v_mov_b32_e32 v3, v2
	global_store_dwordx4 v[4:5], v[0:3], off
	s_mov_b64 s[4:5], 0
.LBB7_1755:
	s_andn2_b64 vcc, exec, s[4:5]
	s_cbranch_vccnz .LBB7_1757
; %bb.1756:
	v_cvt_f32_f64_e32 v2, v[0:1]
	v_mov_b32_e32 v3, 0
	global_store_dwordx2 v[4:5], v[2:3], off
.LBB7_1757:
	s_mov_b64 s[4:5], 0
.LBB7_1758:
	s_andn2_b64 vcc, exec, s[4:5]
	s_cbranch_vccnz .LBB7_1760
; %bb.1759:
	v_cvt_f32_f64_e32 v2, v[0:1]
	v_cvt_f16_f32_e32 v2, v2
	global_store_dword v[4:5], v2, off
.LBB7_1760:
	s_mov_b64 s[4:5], 0
.LBB7_1761:
	s_andn2_b64 vcc, exec, s[4:5]
	s_cbranch_vccnz .LBB7_1770
; %bb.1762:
	v_mov_b32_e32 v2, 6
	v_cmp_lt_i16_sdwa s[6:7], v41, v2 src0_sel:BYTE_0 src1_sel:DWORD
	s_mov_b64 s[4:5], -1
	s_and_b64 vcc, exec, s[6:7]
	s_cbranch_vccnz .LBB7_1768
; %bb.1763:
	v_cmp_gt_i16_sdwa s[6:7], v41, v2 src0_sel:BYTE_0 src1_sel:DWORD
	s_and_b64 vcc, exec, s[6:7]
	s_cbranch_vccz .LBB7_1765
; %bb.1764:
	global_store_dwordx2 v[4:5], v[0:1], off
	s_mov_b64 s[4:5], 0
.LBB7_1765:
	s_andn2_b64 vcc, exec, s[4:5]
	s_cbranch_vccnz .LBB7_1767
; %bb.1766:
	v_cvt_f32_f64_e32 v2, v[0:1]
	global_store_dword v[4:5], v2, off
.LBB7_1767:
	s_mov_b64 s[4:5], 0
.LBB7_1768:
	s_andn2_b64 vcc, exec, s[4:5]
	s_cbranch_vccnz .LBB7_1770
; %bb.1769:
	v_cvt_f32_f64_e32 v2, v[0:1]
	v_cvt_f16_f32_e32 v2, v2
	global_store_short v[4:5], v2, off
.LBB7_1770:
	s_mov_b64 s[4:5], 0
.LBB7_1771:
	s_andn2_b64 vcc, exec, s[4:5]
	s_cbranch_vccnz .LBB7_1787
; %bb.1772:
	v_mov_b32_e32 v2, 2
	v_cmp_lt_i16_sdwa s[6:7], v41, v2 src0_sel:BYTE_0 src1_sel:DWORD
	s_mov_b64 s[4:5], -1
	s_and_b64 vcc, exec, s[6:7]
	s_cbranch_vccnz .LBB7_1782
; %bb.1773:
	v_mov_b32_e32 v2, 3
	v_cmp_lt_i16_sdwa s[6:7], v41, v2 src0_sel:BYTE_0 src1_sel:DWORD
	s_and_b64 vcc, exec, s[6:7]
	s_cbranch_vccnz .LBB7_1779
; %bb.1774:
	v_cmp_gt_i16_sdwa s[6:7], v41, v2 src0_sel:BYTE_0 src1_sel:DWORD
	s_and_b64 vcc, exec, s[6:7]
	s_cbranch_vccz .LBB7_1776
; %bb.1775:
	v_trunc_f64_e32 v[2:3], v[0:1]
	s_movk_i32 s4, 0xffe0
	v_ldexp_f64 v[6:7], v[2:3], s4
	v_floor_f64_e32 v[6:7], v[6:7]
	v_fmac_f64_e32 v[2:3], 0xc1f00000, v[6:7]
	v_cvt_i32_f64_e32 v9, v[6:7]
	v_cvt_u32_f64_e32 v8, v[2:3]
	global_store_dwordx2 v[4:5], v[8:9], off
	s_mov_b64 s[4:5], 0
.LBB7_1776:
	s_andn2_b64 vcc, exec, s[4:5]
	s_cbranch_vccnz .LBB7_1778
; %bb.1777:
	v_cvt_i32_f64_e32 v2, v[0:1]
	global_store_dword v[4:5], v2, off
.LBB7_1778:
	s_mov_b64 s[4:5], 0
.LBB7_1779:
	s_andn2_b64 vcc, exec, s[4:5]
	s_cbranch_vccnz .LBB7_1781
; %bb.1780:
	v_cvt_i32_f64_e32 v2, v[0:1]
	global_store_short v[4:5], v2, off
.LBB7_1781:
	s_mov_b64 s[4:5], 0
.LBB7_1782:
	s_andn2_b64 vcc, exec, s[4:5]
	s_cbranch_vccnz .LBB7_1787
; %bb.1783:
	v_mov_b32_e32 v2, 0
	v_cmp_gt_i16_sdwa s[6:7], v41, v2 src0_sel:BYTE_0 src1_sel:DWORD
	s_mov_b64 s[4:5], -1
	s_and_b64 vcc, exec, s[6:7]
	s_cbranch_vccz .LBB7_1785
; %bb.1784:
	v_cvt_i32_f64_e32 v2, v[0:1]
	global_store_byte v[4:5], v2, off
	s_mov_b64 s[4:5], 0
.LBB7_1785:
	s_andn2_b64 vcc, exec, s[4:5]
	s_cbranch_vccnz .LBB7_1787
; %bb.1786:
	v_trunc_f64_e32 v[0:1], v[0:1]
	s_movk_i32 s4, 0xffe0
	v_ldexp_f64 v[2:3], v[0:1], s4
	v_floor_f64_e32 v[2:3], v[2:3]
	v_fmac_f64_e32 v[0:1], 0xc1f00000, v[2:3]
	v_cvt_u32_f64_e32 v0, v[0:1]
	global_store_byte v[4:5], v0, off
.LBB7_1787:
	s_mov_b64 s[8:9], -1
.LBB7_1788:
	s_andn2_b64 vcc, exec, s[8:9]
	s_cbranch_vccnz .LBB7_1992
; %bb.1789:
	v_mov_b32_e32 v0, v44
	v_mov_b32_e32 v1, v45
	s_getpc_b64 s[4:5]
	s_add_u32 s4, s4, _Z17bessel_j1_forwardIdET_S0_@rel32@lo+4
	s_addc_u32 s5, s5, _Z17bessel_j1_forwardIdET_S0_@rel32@hi+12
	s_swappc_b64 s[30:31], s[4:5]
	v_add_u32_e32 v42, s38, v42
	v_ashrrev_i32_e32 v2, 31, v42
	v_mov_b32_e32 v3, s37
	v_add_co_u32_e32 v4, vcc, s36, v42
	v_addc_co_u32_e32 v5, vcc, v3, v2, vcc
	v_mov_b32_e32 v2, 11
	v_cmp_lt_i16_sdwa s[4:5], v41, v2 src0_sel:BYTE_0 src1_sel:DWORD
	s_and_b64 vcc, exec, s[4:5]
	s_cbranch_vccnz .LBB7_1796
; %bb.1790:
	v_mov_b32_e32 v2, 25
	v_cmp_gt_i16_sdwa s[4:5], v41, v2 src0_sel:BYTE_0 src1_sel:DWORD
	s_mov_b64 s[10:11], -1
	s_mov_b64 s[6:7], 0
	s_and_b64 vcc, exec, s[4:5]
	s_mov_b64 s[8:9], 0
	s_mov_b64 s[4:5], 0
	s_cbranch_vccz .LBB7_1832
; %bb.1791:
	v_mov_b32_e32 v2, 28
	v_cmp_gt_i16_sdwa s[4:5], v41, v2 src0_sel:BYTE_0 src1_sel:DWORD
	s_and_b64 vcc, exec, s[4:5]
	s_cbranch_vccz .LBB7_1797
; %bb.1792:
	v_mov_b32_e32 v2, 43
	v_cmp_gt_i16_sdwa s[4:5], v41, v2 src0_sel:BYTE_0 src1_sel:DWORD
	s_and_b64 vcc, exec, s[4:5]
	;; [unrolled: 5-line block ×3, first 2 shown]
	s_cbranch_vccz .LBB7_1804
; %bb.1794:
	v_mov_b32_e32 v2, 46
	v_cmp_eq_u16_sdwa s[8:9], v41, v2 src0_sel:BYTE_0 src1_sel:DWORD
	s_mov_b64 s[4:5], -1
	s_mov_b64 s[10:11], 0
	s_and_b64 vcc, exec, s[8:9]
	s_mov_b64 s[8:9], 0
	s_cbranch_vccz .LBB7_1805
; %bb.1795:
	v_cvt_f32_f64_e32 v2, v[0:1]
	v_bfe_u32 v3, v2, 16, 1
	s_movk_i32 s4, 0x7fff
	v_add3_u32 v3, v2, v3, s4
	v_lshrrev_b32_e32 v3, 16, v3
	v_mov_b32_e32 v6, 0x7fc0
	v_cmp_o_f32_e32 vcc, v2, v2
	v_cndmask_b32_e32 v2, v6, v3, vcc
	global_store_dword v[4:5], v2, off
	s_mov_b64 s[4:5], 0
	s_mov_b64 s[8:9], -1
	s_branch .LBB7_1805
.LBB7_1796:
	s_mov_b64 s[4:5], -1
	s_mov_b64 s[8:9], 0
	s_branch .LBB7_1876
.LBB7_1797:
	s_mov_b64 s[4:5], 0
	s_branch .LBB7_1815
.LBB7_1798:
	s_or_saveexec_b64 s[12:13], s[12:13]
                                        ; implicit-def: $sgpr14
	s_xor_b64 exec, exec, s[12:13]
	s_cbranch_execz .LBB7_1699
.LBB7_1799:
	s_mov_b32 s14, 0x46000000
	v_add_f32_e64 v3, |v2|, s14
	v_and_b32_e32 v3, 0xff, v3
	v_cmp_ne_u32_e32 vcc, 0, v3
	s_andn2_b64 s[10:11], s[10:11], exec
	s_and_b64 s[16:17], vcc, exec
	s_mov_b32 s14, 0
	s_or_b64 s[10:11], s[10:11], s[16:17]
	s_or_b64 exec, exec, s[12:13]
	v_mov_b32_e32 v6, s14
	s_and_saveexec_b64 s[12:13], s[10:11]
	s_cbranch_execnz .LBB7_1700
	s_branch .LBB7_1701
.LBB7_1800:
	s_mov_b64 s[4:5], 0
	s_branch .LBB7_1811
.LBB7_1801:
	s_trap 2
	s_or_b64 s[48:49], s[48:49], exec
	s_cbranch_execz .LBB7_1747
	s_branch .LBB7_1748
.LBB7_1802:
	s_or_saveexec_b64 s[10:11], s[10:11]
                                        ; implicit-def: $sgpr12
	s_xor_b64 exec, exec, s[10:11]
	s_cbranch_execz .LBB7_1712
.LBB7_1803:
	s_mov_b32 s12, 0x42800000
	v_add_f32_e64 v3, |v2|, s12
	v_and_b32_e32 v3, 0xff, v3
	v_cmp_ne_u32_e32 vcc, 0, v3
	s_andn2_b64 s[8:9], s[8:9], exec
	s_and_b64 s[14:15], vcc, exec
	s_mov_b32 s12, 0
	s_or_b64 s[8:9], s[8:9], s[14:15]
	s_or_b64 exec, exec, s[10:11]
	v_mov_b32_e32 v6, s12
	s_and_saveexec_b64 s[10:11], s[8:9]
	s_cbranch_execnz .LBB7_1713
	s_branch .LBB7_1714
.LBB7_1804:
	s_mov_b64 s[4:5], 0
.LBB7_1805:
	s_and_b64 vcc, exec, s[10:11]
	s_cbranch_vccz .LBB7_1810
; %bb.1806:
	v_mov_b32_e32 v2, 44
	v_cmp_eq_u16_sdwa s[10:11], v41, v2 src0_sel:BYTE_0 src1_sel:DWORD
	s_mov_b64 s[4:5], -1
	s_and_b64 vcc, exec, s[10:11]
	s_cbranch_vccz .LBB7_1810
; %bb.1807:
	v_cvt_f32_f64_e32 v2, v[0:1]
	v_bfe_u32 v3, v2, 23, 8
	s_movk_i32 s4, 0xff
	v_cmp_ne_u32_e32 vcc, s4, v3
	v_mov_b32_e32 v6, 0xff
	s_and_saveexec_b64 s[8:9], vcc
; %bb.1808:
	s_mov_b32 s4, 0x3fffff
	v_lshrrev_b32_e32 v6, 23, v2
	v_and_b32_e32 v7, 0x400000, v2
	v_and_or_b32 v2, v2, s4, v3
	v_cmp_ne_u32_e32 vcc, 0, v7
	v_cmp_ne_u32_e64 s[4:5], 0, v2
	s_and_b64 s[4:5], vcc, s[4:5]
	v_cndmask_b32_e64 v2, 0, 1, s[4:5]
	v_add_u32_e32 v6, v6, v2
; %bb.1809:
	s_or_b64 exec, exec, s[8:9]
	s_mov_b64 s[4:5], 0
	s_mov_b64 s[8:9], -1
	global_store_byte v[4:5], v6, off
.LBB7_1810:
	s_mov_b64 s[10:11], 0
.LBB7_1811:
	s_and_b64 vcc, exec, s[10:11]
	s_cbranch_vccz .LBB7_1814
; %bb.1812:
	v_mov_b32_e32 v2, 29
	v_cmp_eq_u16_sdwa s[10:11], v41, v2 src0_sel:BYTE_0 src1_sel:DWORD
	s_mov_b64 s[4:5], -1
	s_and_b64 vcc, exec, s[10:11]
	s_cbranch_vccz .LBB7_1814
; %bb.1813:
	v_trunc_f64_e32 v[2:3], v[0:1]
	s_movk_i32 s4, 0xffe0
	v_ldexp_f64 v[6:7], v[2:3], s4
	v_floor_f64_e32 v[6:7], v[6:7]
	v_fmac_f64_e32 v[2:3], 0xc1f00000, v[6:7]
	v_cvt_u32_f64_e32 v9, v[6:7]
	v_cvt_u32_f64_e32 v8, v[2:3]
	global_store_dwordx2 v[4:5], v[8:9], off
	s_mov_b64 s[4:5], 0
	s_mov_b64 s[8:9], -1
.LBB7_1814:
	s_mov_b64 s[10:11], 0
.LBB7_1815:
	s_and_b64 vcc, exec, s[10:11]
	s_cbranch_vccz .LBB7_1831
; %bb.1816:
	v_mov_b32_e32 v2, 27
	v_cmp_lt_i16_sdwa s[10:11], v41, v2 src0_sel:BYTE_0 src1_sel:DWORD
	s_mov_b64 s[8:9], -1
	s_and_b64 vcc, exec, s[10:11]
	s_cbranch_vccnz .LBB7_1822
; %bb.1817:
	v_cmp_gt_i16_sdwa s[10:11], v41, v2 src0_sel:BYTE_0 src1_sel:DWORD
	s_and_b64 vcc, exec, s[10:11]
	v_cvt_u32_f64_e32 v2, v[0:1]
	s_cbranch_vccz .LBB7_1819
; %bb.1818:
	s_mov_b64 s[8:9], 0
	global_store_dword v[4:5], v2, off
.LBB7_1819:
	s_andn2_b64 vcc, exec, s[8:9]
	s_cbranch_vccnz .LBB7_1821
; %bb.1820:
	global_store_short v[4:5], v2, off
.LBB7_1821:
	s_mov_b64 s[8:9], 0
.LBB7_1822:
	s_andn2_b64 vcc, exec, s[8:9]
	s_cbranch_vccnz .LBB7_1830
; %bb.1823:
	v_cvt_f32_f64_e32 v2, v[0:1]
	v_and_b32_e32 v3, 0x7fffffff, v2
	s_mov_b32 s8, 0x43800000
	v_cmp_gt_u32_e32 vcc, s8, v3
	v_mov_b32_e32 v6, 0x80
	s_and_saveexec_b64 s[8:9], vcc
	s_cbranch_execz .LBB7_1829
; %bb.1824:
	s_mov_b32 s10, 0x3bffffff
	v_cmp_lt_u32_e32 vcc, s10, v3
	s_mov_b64 s[10:11], 0
                                        ; implicit-def: $vgpr3
	s_and_saveexec_b64 s[12:13], vcc
	s_xor_b64 s[12:13], exec, s[12:13]
	s_cbranch_execz .LBB7_2038
; %bb.1825:
	v_bfe_u32 v3, v2, 20, 1
	s_mov_b32 s14, 0x487ffff
	v_add3_u32 v3, v2, v3, s14
	s_mov_b64 s[10:11], exec
	v_lshrrev_b32_e32 v3, 20, v3
	s_or_saveexec_b64 s[12:13], s[12:13]
                                        ; implicit-def: $sgpr14
	s_xor_b64 exec, exec, s[12:13]
	s_cbranch_execnz .LBB7_2039
.LBB7_1826:
	s_or_b64 exec, exec, s[12:13]
	v_mov_b32_e32 v6, s14
	s_and_saveexec_b64 s[12:13], s[10:11]
.LBB7_1827:
	v_lshrrev_b32_e32 v2, 24, v2
	s_movk_i32 s10, 0x80
	v_and_or_b32 v6, v2, s10, v3
.LBB7_1828:
	s_or_b64 exec, exec, s[12:13]
.LBB7_1829:
	s_or_b64 exec, exec, s[8:9]
	global_store_byte v[4:5], v6, off
.LBB7_1830:
	s_mov_b64 s[8:9], -1
.LBB7_1831:
	s_mov_b64 s[10:11], 0
.LBB7_1832:
	s_and_b64 vcc, exec, s[10:11]
	s_cbranch_vccz .LBB7_1872
; %bb.1833:
	v_mov_b32_e32 v2, 22
	v_cmp_gt_i16_sdwa s[10:11], v41, v2 src0_sel:BYTE_0 src1_sel:DWORD
	s_mov_b64 s[6:7], -1
	s_and_b64 vcc, exec, s[10:11]
	s_cbranch_vccz .LBB7_1865
; %bb.1834:
	v_mov_b32_e32 v2, 24
	v_cmp_lt_i16_sdwa s[8:9], v41, v2 src0_sel:BYTE_0 src1_sel:DWORD
	s_and_b64 vcc, exec, s[8:9]
	s_cbranch_vccnz .LBB7_1854
; %bb.1835:
	v_cmp_gt_i16_sdwa s[8:9], v41, v2 src0_sel:BYTE_0 src1_sel:DWORD
	s_and_b64 vcc, exec, s[8:9]
	s_cbranch_vccz .LBB7_1843
; %bb.1836:
	v_cvt_f32_f64_e32 v2, v[0:1]
	v_and_b32_e32 v3, 0x7fffffff, v2
	s_mov_b32 s6, 0x47800000
	v_cmp_gt_u32_e32 vcc, s6, v3
	v_mov_b32_e32 v6, 0x80
	s_and_saveexec_b64 s[6:7], vcc
	s_cbranch_execz .LBB7_1842
; %bb.1837:
	s_mov_b32 s8, 0x37ffffff
	v_cmp_lt_u32_e32 vcc, s8, v3
	s_mov_b64 s[8:9], 0
                                        ; implicit-def: $vgpr3
	s_and_saveexec_b64 s[10:11], vcc
	s_xor_b64 s[10:11], exec, s[10:11]
	s_cbranch_execz .LBB7_2041
; %bb.1838:
	v_bfe_u32 v3, v2, 21, 1
	s_mov_b32 s12, 0x88fffff
	v_add3_u32 v3, v2, v3, s12
	s_mov_b64 s[8:9], exec
	v_lshrrev_b32_e32 v3, 21, v3
	s_or_saveexec_b64 s[10:11], s[10:11]
                                        ; implicit-def: $sgpr12
	s_xor_b64 exec, exec, s[10:11]
	s_cbranch_execnz .LBB7_2042
.LBB7_1839:
	s_or_b64 exec, exec, s[10:11]
	v_mov_b32_e32 v6, s12
	s_and_saveexec_b64 s[10:11], s[8:9]
.LBB7_1840:
	v_lshrrev_b32_e32 v2, 24, v2
	s_movk_i32 s8, 0x80
	v_and_or_b32 v6, v2, s8, v3
.LBB7_1841:
	s_or_b64 exec, exec, s[10:11]
.LBB7_1842:
	s_or_b64 exec, exec, s[6:7]
	s_mov_b64 s[6:7], 0
	global_store_byte v[4:5], v6, off
.LBB7_1843:
	s_and_b64 vcc, exec, s[6:7]
	s_cbranch_vccz .LBB7_1853
; %bb.1844:
	v_cvt_f32_f64_e32 v2, v[0:1]
	v_and_b32_e32 v6, 0x7fffffff, v2
	s_mov_b32 s6, 0x43f00000
	v_cmp_gt_u32_e32 vcc, s6, v6
                                        ; implicit-def: $vgpr3
	s_and_saveexec_b64 s[6:7], vcc
	s_xor_b64 s[6:7], exec, s[6:7]
	s_cbranch_execz .LBB7_1850
; %bb.1845:
	s_mov_b32 s8, 0x3c7fffff
	v_cmp_lt_u32_e32 vcc, s8, v6
                                        ; implicit-def: $vgpr3
	s_and_saveexec_b64 s[8:9], vcc
	s_xor_b64 s[8:9], exec, s[8:9]
; %bb.1846:
	v_bfe_u32 v3, v2, 20, 1
	s_mov_b32 s10, 0x407ffff
	v_add3_u32 v3, v2, v3, s10
	v_lshrrev_b32_e32 v6, 20, v3
	v_and_b32_e32 v3, 0xff00000, v3
	s_mov_b32 s10, 0x7f00000
	v_mov_b32_e32 v7, 0x7e
	v_cmp_ne_u32_e32 vcc, s10, v3
	v_cndmask_b32_e32 v3, v7, v6, vcc
; %bb.1847:
	s_andn2_saveexec_b64 s[8:9], s[8:9]
; %bb.1848:
	s_mov_b32 s10, 0x46800000
	v_add_f32_e64 v3, |v2|, s10
; %bb.1849:
	s_or_b64 exec, exec, s[8:9]
                                        ; implicit-def: $vgpr6
.LBB7_1850:
	s_andn2_saveexec_b64 s[6:7], s[6:7]
; %bb.1851:
	s_mov_b32 s8, 0x7f800000
	v_mov_b32_e32 v3, 0x7e
	v_mov_b32_e32 v7, 0x7f
	v_cmp_lt_u32_e32 vcc, s8, v6
	v_cndmask_b32_e32 v3, v3, v7, vcc
; %bb.1852:
	s_or_b64 exec, exec, s[6:7]
	v_lshrrev_b32_e32 v2, 24, v2
	s_movk_i32 s6, 0x80
	v_and_or_b32 v2, v2, s6, v3
	global_store_byte v[4:5], v2, off
.LBB7_1853:
	s_mov_b64 s[6:7], 0
.LBB7_1854:
	s_andn2_b64 vcc, exec, s[6:7]
	s_cbranch_vccnz .LBB7_1864
; %bb.1855:
	v_cvt_f32_f64_e32 v2, v[0:1]
	v_and_b32_e32 v6, 0x7fffffff, v2
	s_mov_b32 s6, 0x47800000
	v_cmp_gt_u32_e32 vcc, s6, v6
                                        ; implicit-def: $vgpr3
	s_and_saveexec_b64 s[6:7], vcc
	s_xor_b64 s[6:7], exec, s[6:7]
	s_cbranch_execz .LBB7_1861
; %bb.1856:
	s_mov_b32 s8, 0x387fffff
	v_cmp_lt_u32_e32 vcc, s8, v6
                                        ; implicit-def: $vgpr3
	s_and_saveexec_b64 s[8:9], vcc
	s_xor_b64 s[8:9], exec, s[8:9]
; %bb.1857:
	v_bfe_u32 v3, v2, 21, 1
	s_mov_b32 s10, 0x80fffff
	v_add3_u32 v3, v2, v3, s10
	v_lshrrev_b32_e32 v3, 21, v3
; %bb.1858:
	s_andn2_saveexec_b64 s[8:9], s[8:9]
; %bb.1859:
	s_mov_b32 s10, 0x43000000
	v_add_f32_e64 v3, |v2|, s10
; %bb.1860:
	s_or_b64 exec, exec, s[8:9]
                                        ; implicit-def: $vgpr6
.LBB7_1861:
	s_andn2_saveexec_b64 s[6:7], s[6:7]
; %bb.1862:
	s_mov_b32 s8, 0x7f800000
	v_mov_b32_e32 v3, 0x7c
	v_mov_b32_e32 v7, 0x7f
	v_cmp_lt_u32_e32 vcc, s8, v6
	v_cndmask_b32_e32 v3, v3, v7, vcc
; %bb.1863:
	s_or_b64 exec, exec, s[6:7]
	v_lshrrev_b32_e32 v2, 24, v2
	s_movk_i32 s6, 0x80
	v_and_or_b32 v2, v2, s6, v3
	global_store_byte v[4:5], v2, off
.LBB7_1864:
	s_mov_b64 s[6:7], 0
	s_mov_b64 s[8:9], -1
.LBB7_1865:
	s_andn2_b64 vcc, exec, s[6:7]
	s_mov_b64 s[6:7], 0
	s_cbranch_vccnz .LBB7_1872
; %bb.1866:
	v_mov_b32_e32 v2, 14
	v_cmp_gt_i16_sdwa s[6:7], v41, v2 src0_sel:BYTE_0 src1_sel:DWORD
	s_mov_b64 s[10:11], -1
	s_and_b64 vcc, exec, s[6:7]
	s_cbranch_vccz .LBB7_1870
; %bb.1867:
	v_mov_b32_e32 v2, 15
	v_cmp_eq_u16_sdwa s[6:7], v41, v2 src0_sel:BYTE_0 src1_sel:DWORD
	s_mov_b64 s[4:5], -1
	s_and_b64 vcc, exec, s[6:7]
	s_cbranch_vccz .LBB7_1869
; %bb.1868:
	v_cvt_f32_f64_e32 v2, v[0:1]
	v_bfe_u32 v3, v2, 16, 1
	s_movk_i32 s4, 0x7fff
	v_add3_u32 v3, v2, v3, s4
	v_lshrrev_b32_e32 v3, 16, v3
	v_mov_b32_e32 v6, 0x7fc0
	v_cmp_o_f32_e32 vcc, v2, v2
	v_cndmask_b32_e32 v2, v6, v3, vcc
	global_store_short v[4:5], v2, off
	s_mov_b64 s[4:5], 0
	s_mov_b64 s[8:9], -1
.LBB7_1869:
	s_mov_b64 s[10:11], 0
.LBB7_1870:
	s_mov_b64 s[6:7], 0
	s_and_b64 vcc, exec, s[10:11]
	s_cbranch_vccz .LBB7_1872
; %bb.1871:
	v_mov_b32_e32 v2, 11
	v_cmp_ne_u16_sdwa s[4:5], v41, v2 src0_sel:BYTE_0 src1_sel:DWORD
	s_mov_b64 s[6:7], -1
.LBB7_1872:
	s_and_b64 vcc, exec, s[4:5]
	s_cbranch_vccnz .LBB7_2040
; %bb.1873:
	s_andn2_b64 vcc, exec, s[6:7]
	s_cbranch_vccnz .LBB7_1875
.LBB7_1874:
	v_cmp_neq_f64_e32 vcc, 0, v[0:1]
	v_cndmask_b32_e64 v2, 0, 1, vcc
	s_mov_b64 s[8:9], -1
	global_store_byte v[4:5], v2, off
.LBB7_1875:
	s_mov_b64 s[4:5], 0
.LBB7_1876:
	s_and_b64 vcc, exec, s[4:5]
	s_cbranch_vccz .LBB7_1915
; %bb.1877:
	v_mov_b32_e32 v2, 5
	v_cmp_lt_i16_sdwa s[6:7], v41, v2 src0_sel:BYTE_0 src1_sel:DWORD
	s_mov_b64 s[4:5], -1
	s_and_b64 vcc, exec, s[6:7]
	s_cbranch_vccnz .LBB7_1898
; %bb.1878:
	v_mov_b32_e32 v2, 8
	v_cmp_lt_i16_sdwa s[6:7], v41, v2 src0_sel:BYTE_0 src1_sel:DWORD
	s_and_b64 vcc, exec, s[6:7]
	s_cbranch_vccnz .LBB7_1888
; %bb.1879:
	v_mov_b32_e32 v2, 9
	v_cmp_lt_i16_sdwa s[6:7], v41, v2 src0_sel:BYTE_0 src1_sel:DWORD
	s_and_b64 vcc, exec, s[6:7]
	s_cbranch_vccnz .LBB7_1885
; %bb.1880:
	v_cmp_gt_i16_sdwa s[6:7], v41, v2 src0_sel:BYTE_0 src1_sel:DWORD
	s_and_b64 vcc, exec, s[6:7]
	s_cbranch_vccz .LBB7_1882
; %bb.1881:
	v_mov_b32_e32 v2, 0
	v_mov_b32_e32 v3, v2
	global_store_dwordx4 v[4:5], v[0:3], off
	s_mov_b64 s[4:5], 0
.LBB7_1882:
	s_andn2_b64 vcc, exec, s[4:5]
	s_cbranch_vccnz .LBB7_1884
; %bb.1883:
	v_cvt_f32_f64_e32 v2, v[0:1]
	v_mov_b32_e32 v3, 0
	global_store_dwordx2 v[4:5], v[2:3], off
.LBB7_1884:
	s_mov_b64 s[4:5], 0
.LBB7_1885:
	s_andn2_b64 vcc, exec, s[4:5]
	s_cbranch_vccnz .LBB7_1887
; %bb.1886:
	v_cvt_f32_f64_e32 v2, v[0:1]
	v_cvt_f16_f32_e32 v2, v2
	global_store_dword v[4:5], v2, off
.LBB7_1887:
	s_mov_b64 s[4:5], 0
.LBB7_1888:
	s_andn2_b64 vcc, exec, s[4:5]
	s_cbranch_vccnz .LBB7_1897
; %bb.1889:
	v_mov_b32_e32 v2, 6
	v_cmp_lt_i16_sdwa s[6:7], v41, v2 src0_sel:BYTE_0 src1_sel:DWORD
	s_mov_b64 s[4:5], -1
	s_and_b64 vcc, exec, s[6:7]
	s_cbranch_vccnz .LBB7_1895
; %bb.1890:
	v_cmp_gt_i16_sdwa s[6:7], v41, v2 src0_sel:BYTE_0 src1_sel:DWORD
	s_and_b64 vcc, exec, s[6:7]
	s_cbranch_vccz .LBB7_1892
; %bb.1891:
	global_store_dwordx2 v[4:5], v[0:1], off
	s_mov_b64 s[4:5], 0
.LBB7_1892:
	s_andn2_b64 vcc, exec, s[4:5]
	s_cbranch_vccnz .LBB7_1894
; %bb.1893:
	v_cvt_f32_f64_e32 v2, v[0:1]
	global_store_dword v[4:5], v2, off
.LBB7_1894:
	s_mov_b64 s[4:5], 0
.LBB7_1895:
	s_andn2_b64 vcc, exec, s[4:5]
	s_cbranch_vccnz .LBB7_1897
; %bb.1896:
	v_cvt_f32_f64_e32 v2, v[0:1]
	v_cvt_f16_f32_e32 v2, v2
	global_store_short v[4:5], v2, off
.LBB7_1897:
	s_mov_b64 s[4:5], 0
.LBB7_1898:
	s_andn2_b64 vcc, exec, s[4:5]
	s_cbranch_vccnz .LBB7_1914
; %bb.1899:
	v_mov_b32_e32 v2, 2
	v_cmp_lt_i16_sdwa s[6:7], v41, v2 src0_sel:BYTE_0 src1_sel:DWORD
	s_mov_b64 s[4:5], -1
	s_and_b64 vcc, exec, s[6:7]
	s_cbranch_vccnz .LBB7_1909
; %bb.1900:
	v_mov_b32_e32 v2, 3
	v_cmp_lt_i16_sdwa s[6:7], v41, v2 src0_sel:BYTE_0 src1_sel:DWORD
	s_and_b64 vcc, exec, s[6:7]
	s_cbranch_vccnz .LBB7_1906
; %bb.1901:
	v_cmp_gt_i16_sdwa s[6:7], v41, v2 src0_sel:BYTE_0 src1_sel:DWORD
	s_and_b64 vcc, exec, s[6:7]
	s_cbranch_vccz .LBB7_1903
; %bb.1902:
	v_trunc_f64_e32 v[2:3], v[0:1]
	s_movk_i32 s4, 0xffe0
	v_ldexp_f64 v[6:7], v[2:3], s4
	v_floor_f64_e32 v[6:7], v[6:7]
	v_fmac_f64_e32 v[2:3], 0xc1f00000, v[6:7]
	v_cvt_i32_f64_e32 v9, v[6:7]
	v_cvt_u32_f64_e32 v8, v[2:3]
	global_store_dwordx2 v[4:5], v[8:9], off
	s_mov_b64 s[4:5], 0
.LBB7_1903:
	s_andn2_b64 vcc, exec, s[4:5]
	s_cbranch_vccnz .LBB7_1905
; %bb.1904:
	v_cvt_i32_f64_e32 v2, v[0:1]
	global_store_dword v[4:5], v2, off
.LBB7_1905:
	s_mov_b64 s[4:5], 0
.LBB7_1906:
	s_andn2_b64 vcc, exec, s[4:5]
	s_cbranch_vccnz .LBB7_1908
; %bb.1907:
	v_cvt_i32_f64_e32 v2, v[0:1]
	global_store_short v[4:5], v2, off
.LBB7_1908:
	s_mov_b64 s[4:5], 0
.LBB7_1909:
	s_andn2_b64 vcc, exec, s[4:5]
	s_cbranch_vccnz .LBB7_1914
; %bb.1910:
	v_mov_b32_e32 v2, 0
	v_cmp_gt_i16_sdwa s[6:7], v41, v2 src0_sel:BYTE_0 src1_sel:DWORD
	s_mov_b64 s[4:5], -1
	s_and_b64 vcc, exec, s[6:7]
	s_cbranch_vccz .LBB7_1912
; %bb.1911:
	v_cvt_i32_f64_e32 v2, v[0:1]
	global_store_byte v[4:5], v2, off
	s_mov_b64 s[4:5], 0
.LBB7_1912:
	s_andn2_b64 vcc, exec, s[4:5]
	s_cbranch_vccnz .LBB7_1914
; %bb.1913:
	v_trunc_f64_e32 v[0:1], v[0:1]
	s_movk_i32 s4, 0xffe0
	v_ldexp_f64 v[2:3], v[0:1], s4
	v_floor_f64_e32 v[2:3], v[2:3]
	v_fmac_f64_e32 v[0:1], 0xc1f00000, v[2:3]
	v_cvt_u32_f64_e32 v0, v[0:1]
	global_store_byte v[4:5], v0, off
.LBB7_1914:
	s_mov_b64 s[8:9], -1
.LBB7_1915:
	s_andn2_b64 vcc, exec, s[8:9]
	s_cbranch_vccnz .LBB7_1992
; %bb.1916:
	v_mov_b32_e32 v0, v46
	v_mov_b32_e32 v1, v47
	s_getpc_b64 s[4:5]
	s_add_u32 s4, s4, _Z17bessel_j1_forwardIdET_S0_@rel32@lo+4
	s_addc_u32 s5, s5, _Z17bessel_j1_forwardIdET_S0_@rel32@hi+12
	s_swappc_b64 s[30:31], s[4:5]
	v_add_u32_e32 v2, s38, v42
	v_ashrrev_i32_e32 v3, 31, v2
	v_mov_b32_e32 v5, s37
	v_add_co_u32_e32 v4, vcc, s36, v2
	v_addc_co_u32_e32 v5, vcc, v5, v3, vcc
	v_and_b32_e32 v6, 0xff, v41
	v_cmp_gt_i16_e32 vcc, 11, v6
	s_cbranch_vccnz .LBB7_2037
; %bb.1917:
	v_cmp_lt_i16_e32 vcc, 25, v6
	s_mov_b64 s[8:9], -1
	s_mov_b64 s[6:7], 0
	s_mov_b64 s[4:5], 0
	s_cbranch_vccz .LBB7_1950
; %bb.1918:
	v_cmp_lt_i16_e32 vcc, 28, v6
	s_cbranch_vccz .LBB7_1934
; %bb.1919:
	v_cmp_lt_i16_e32 vcc, 43, v6
	;; [unrolled: 3-line block ×3, first 2 shown]
	s_cbranch_vccz .LBB7_1924
; %bb.1921:
	v_cmp_eq_u16_e32 vcc, 46, v6
	s_mov_b64 s[4:5], -1
	s_cbranch_vccz .LBB7_1923
; %bb.1922:
	v_cvt_f32_f64_e32 v2, v[0:1]
	v_bfe_u32 v3, v2, 16, 1
	s_movk_i32 s4, 0x7fff
	v_add3_u32 v3, v2, v3, s4
	v_lshrrev_b32_e32 v3, 16, v3
	v_mov_b32_e32 v7, 0x7fc0
	v_cmp_o_f32_e32 vcc, v2, v2
	v_cndmask_b32_e32 v2, v7, v3, vcc
	global_store_dword v[4:5], v2, off
	s_mov_b64 s[4:5], 0
.LBB7_1923:
	s_mov_b64 s[8:9], 0
.LBB7_1924:
	s_and_b64 vcc, exec, s[8:9]
	s_cbranch_vccz .LBB7_1929
; %bb.1925:
	v_cmp_eq_u16_e32 vcc, 44, v6
	s_mov_b64 s[4:5], -1
	s_cbranch_vccz .LBB7_1929
; %bb.1926:
	v_cvt_f32_f64_e32 v2, v[0:1]
	v_bfe_u32 v3, v2, 23, 8
	s_movk_i32 s4, 0xff
	v_cmp_ne_u32_e32 vcc, s4, v3
	v_mov_b32_e32 v7, 0xff
	s_and_saveexec_b64 s[8:9], vcc
; %bb.1927:
	s_mov_b32 s4, 0x3fffff
	v_lshrrev_b32_e32 v7, 23, v2
	v_and_b32_e32 v8, 0x400000, v2
	v_and_or_b32 v2, v2, s4, v3
	v_cmp_ne_u32_e32 vcc, 0, v8
	v_cmp_ne_u32_e64 s[4:5], 0, v2
	s_and_b64 s[4:5], vcc, s[4:5]
	v_cndmask_b32_e64 v2, 0, 1, s[4:5]
	v_add_u32_e32 v7, v7, v2
; %bb.1928:
	s_or_b64 exec, exec, s[8:9]
	s_mov_b64 s[4:5], 0
	global_store_byte v[4:5], v7, off
.LBB7_1929:
	s_mov_b64 s[8:9], 0
.LBB7_1930:
	s_and_b64 vcc, exec, s[8:9]
	s_cbranch_vccz .LBB7_1933
; %bb.1931:
	v_cmp_eq_u16_e32 vcc, 29, v6
	s_mov_b64 s[4:5], -1
	s_cbranch_vccz .LBB7_1933
; %bb.1932:
	v_trunc_f64_e32 v[2:3], v[0:1]
	s_movk_i32 s4, 0xffe0
	v_ldexp_f64 v[8:9], v[2:3], s4
	v_floor_f64_e32 v[8:9], v[8:9]
	v_fmac_f64_e32 v[2:3], 0xc1f00000, v[8:9]
	v_cvt_u32_f64_e32 v11, v[8:9]
	v_cvt_u32_f64_e32 v10, v[2:3]
	global_store_dwordx2 v[4:5], v[10:11], off
	s_mov_b64 s[4:5], 0
.LBB7_1933:
	s_mov_b64 s[8:9], 0
.LBB7_1934:
	s_and_b64 vcc, exec, s[8:9]
	s_cbranch_vccz .LBB7_1949
; %bb.1935:
	v_cmp_gt_i16_e32 vcc, 27, v6
	s_mov_b64 s[8:9], -1
	s_cbranch_vccnz .LBB7_1941
; %bb.1936:
	v_cmp_lt_i16_e32 vcc, 27, v6
	v_cvt_u32_f64_e32 v2, v[0:1]
	s_cbranch_vccz .LBB7_1938
; %bb.1937:
	global_store_dword v[4:5], v2, off
	s_mov_b64 s[8:9], 0
.LBB7_1938:
	s_andn2_b64 vcc, exec, s[8:9]
	s_cbranch_vccnz .LBB7_1940
; %bb.1939:
	global_store_short v[4:5], v2, off
.LBB7_1940:
	s_mov_b64 s[8:9], 0
.LBB7_1941:
	s_andn2_b64 vcc, exec, s[8:9]
	s_cbranch_vccnz .LBB7_1949
; %bb.1942:
	v_cvt_f32_f64_e32 v2, v[0:1]
	v_and_b32_e32 v3, 0x7fffffff, v2
	s_mov_b32 s8, 0x43800000
	v_cmp_gt_u32_e32 vcc, s8, v3
	v_mov_b32_e32 v7, 0x80
	s_and_saveexec_b64 s[8:9], vcc
	s_cbranch_execz .LBB7_1948
; %bb.1943:
	s_mov_b32 s10, 0x3bffffff
	v_cmp_lt_u32_e32 vcc, s10, v3
	s_mov_b64 s[10:11], 0
                                        ; implicit-def: $vgpr3
	s_and_saveexec_b64 s[12:13], vcc
	s_xor_b64 s[12:13], exec, s[12:13]
	s_cbranch_execz .LBB7_2043
; %bb.1944:
	v_bfe_u32 v3, v2, 20, 1
	s_mov_b32 s14, 0x487ffff
	v_add3_u32 v3, v2, v3, s14
	s_mov_b64 s[10:11], exec
	v_lshrrev_b32_e32 v3, 20, v3
	s_or_saveexec_b64 s[12:13], s[12:13]
                                        ; implicit-def: $sgpr14
	s_xor_b64 exec, exec, s[12:13]
	s_cbranch_execnz .LBB7_2044
.LBB7_1945:
	s_or_b64 exec, exec, s[12:13]
	v_mov_b32_e32 v7, s14
	s_and_saveexec_b64 s[12:13], s[10:11]
.LBB7_1946:
	v_lshrrev_b32_e32 v2, 24, v2
	s_movk_i32 s10, 0x80
	v_and_or_b32 v7, v2, s10, v3
.LBB7_1947:
	s_or_b64 exec, exec, s[12:13]
.LBB7_1948:
	s_or_b64 exec, exec, s[8:9]
	global_store_byte v[4:5], v7, off
.LBB7_1949:
	s_mov_b64 s[8:9], 0
.LBB7_1950:
	s_and_b64 vcc, exec, s[8:9]
	s_cbranch_vccz .LBB7_1990
; %bb.1951:
	v_cmp_lt_i16_e32 vcc, 22, v6
	s_mov_b64 s[6:7], -1
	s_cbranch_vccz .LBB7_1983
; %bb.1952:
	v_cmp_gt_i16_e32 vcc, 24, v6
	s_cbranch_vccnz .LBB7_1972
; %bb.1953:
	v_cmp_lt_i16_e32 vcc, 24, v6
	s_cbranch_vccz .LBB7_1961
; %bb.1954:
	v_cvt_f32_f64_e32 v2, v[0:1]
	v_and_b32_e32 v3, 0x7fffffff, v2
	s_mov_b32 s6, 0x47800000
	v_cmp_gt_u32_e32 vcc, s6, v3
	v_mov_b32_e32 v7, 0x80
	s_and_saveexec_b64 s[6:7], vcc
	s_cbranch_execz .LBB7_1960
; %bb.1955:
	s_mov_b32 s8, 0x37ffffff
	v_cmp_lt_u32_e32 vcc, s8, v3
	s_mov_b64 s[8:9], 0
                                        ; implicit-def: $vgpr3
	s_and_saveexec_b64 s[10:11], vcc
	s_xor_b64 s[10:11], exec, s[10:11]
	s_cbranch_execz .LBB7_2046
; %bb.1956:
	v_bfe_u32 v3, v2, 21, 1
	s_mov_b32 s12, 0x88fffff
	v_add3_u32 v3, v2, v3, s12
	s_mov_b64 s[8:9], exec
	v_lshrrev_b32_e32 v3, 21, v3
	s_or_saveexec_b64 s[10:11], s[10:11]
                                        ; implicit-def: $sgpr12
	s_xor_b64 exec, exec, s[10:11]
	s_cbranch_execnz .LBB7_2047
.LBB7_1957:
	s_or_b64 exec, exec, s[10:11]
	v_mov_b32_e32 v7, s12
	s_and_saveexec_b64 s[10:11], s[8:9]
.LBB7_1958:
	v_lshrrev_b32_e32 v2, 24, v2
	s_movk_i32 s8, 0x80
	v_and_or_b32 v7, v2, s8, v3
.LBB7_1959:
	s_or_b64 exec, exec, s[10:11]
.LBB7_1960:
	s_or_b64 exec, exec, s[6:7]
	s_mov_b64 s[6:7], 0
	global_store_byte v[4:5], v7, off
.LBB7_1961:
	s_and_b64 vcc, exec, s[6:7]
	s_cbranch_vccz .LBB7_1971
; %bb.1962:
	v_cvt_f32_f64_e32 v2, v[0:1]
	v_and_b32_e32 v7, 0x7fffffff, v2
	s_mov_b32 s6, 0x43f00000
	v_cmp_gt_u32_e32 vcc, s6, v7
                                        ; implicit-def: $vgpr3
	s_and_saveexec_b64 s[6:7], vcc
	s_xor_b64 s[6:7], exec, s[6:7]
	s_cbranch_execz .LBB7_1968
; %bb.1963:
	s_mov_b32 s8, 0x3c7fffff
	v_cmp_lt_u32_e32 vcc, s8, v7
                                        ; implicit-def: $vgpr3
	s_and_saveexec_b64 s[8:9], vcc
	s_xor_b64 s[8:9], exec, s[8:9]
; %bb.1964:
	v_bfe_u32 v3, v2, 20, 1
	s_mov_b32 s10, 0x407ffff
	v_add3_u32 v3, v2, v3, s10
	v_lshrrev_b32_e32 v7, 20, v3
	v_and_b32_e32 v3, 0xff00000, v3
	s_mov_b32 s10, 0x7f00000
	v_mov_b32_e32 v8, 0x7e
	v_cmp_ne_u32_e32 vcc, s10, v3
	v_cndmask_b32_e32 v3, v8, v7, vcc
; %bb.1965:
	s_andn2_saveexec_b64 s[8:9], s[8:9]
; %bb.1966:
	s_mov_b32 s10, 0x46800000
	v_add_f32_e64 v3, |v2|, s10
; %bb.1967:
	s_or_b64 exec, exec, s[8:9]
                                        ; implicit-def: $vgpr7
.LBB7_1968:
	s_andn2_saveexec_b64 s[6:7], s[6:7]
; %bb.1969:
	s_mov_b32 s8, 0x7f800000
	v_mov_b32_e32 v3, 0x7e
	v_mov_b32_e32 v8, 0x7f
	v_cmp_lt_u32_e32 vcc, s8, v7
	v_cndmask_b32_e32 v3, v3, v8, vcc
; %bb.1970:
	s_or_b64 exec, exec, s[6:7]
	v_lshrrev_b32_e32 v2, 24, v2
	s_movk_i32 s6, 0x80
	v_and_or_b32 v2, v2, s6, v3
	global_store_byte v[4:5], v2, off
.LBB7_1971:
	s_mov_b64 s[6:7], 0
.LBB7_1972:
	s_andn2_b64 vcc, exec, s[6:7]
	s_cbranch_vccnz .LBB7_1982
; %bb.1973:
	v_cvt_f32_f64_e32 v2, v[0:1]
	v_and_b32_e32 v7, 0x7fffffff, v2
	s_mov_b32 s6, 0x47800000
	v_cmp_gt_u32_e32 vcc, s6, v7
                                        ; implicit-def: $vgpr3
	s_and_saveexec_b64 s[6:7], vcc
	s_xor_b64 s[6:7], exec, s[6:7]
	s_cbranch_execz .LBB7_1979
; %bb.1974:
	s_mov_b32 s8, 0x387fffff
	v_cmp_lt_u32_e32 vcc, s8, v7
                                        ; implicit-def: $vgpr3
	s_and_saveexec_b64 s[8:9], vcc
	s_xor_b64 s[8:9], exec, s[8:9]
; %bb.1975:
	v_bfe_u32 v3, v2, 21, 1
	s_mov_b32 s10, 0x80fffff
	v_add3_u32 v3, v2, v3, s10
	v_lshrrev_b32_e32 v3, 21, v3
; %bb.1976:
	s_andn2_saveexec_b64 s[8:9], s[8:9]
; %bb.1977:
	s_mov_b32 s10, 0x43000000
	v_add_f32_e64 v3, |v2|, s10
; %bb.1978:
	s_or_b64 exec, exec, s[8:9]
                                        ; implicit-def: $vgpr7
.LBB7_1979:
	s_andn2_saveexec_b64 s[6:7], s[6:7]
; %bb.1980:
	s_mov_b32 s8, 0x7f800000
	v_mov_b32_e32 v3, 0x7c
	v_mov_b32_e32 v8, 0x7f
	v_cmp_lt_u32_e32 vcc, s8, v7
	v_cndmask_b32_e32 v3, v3, v8, vcc
; %bb.1981:
	s_or_b64 exec, exec, s[6:7]
	v_lshrrev_b32_e32 v2, 24, v2
	s_movk_i32 s6, 0x80
	v_and_or_b32 v2, v2, s6, v3
	global_store_byte v[4:5], v2, off
.LBB7_1982:
	s_mov_b64 s[6:7], 0
.LBB7_1983:
	s_andn2_b64 vcc, exec, s[6:7]
	s_mov_b64 s[6:7], 0
	s_cbranch_vccnz .LBB7_1990
; %bb.1984:
	v_cmp_lt_i16_e32 vcc, 14, v6
	s_mov_b64 s[8:9], -1
	s_cbranch_vccz .LBB7_1988
; %bb.1985:
	v_cmp_eq_u16_e32 vcc, 15, v6
	s_mov_b64 s[4:5], -1
	s_cbranch_vccz .LBB7_1987
; %bb.1986:
	v_cvt_f32_f64_e32 v2, v[0:1]
	v_bfe_u32 v3, v2, 16, 1
	s_movk_i32 s4, 0x7fff
	v_add3_u32 v3, v2, v3, s4
	v_lshrrev_b32_e32 v3, 16, v3
	v_mov_b32_e32 v7, 0x7fc0
	v_cmp_o_f32_e32 vcc, v2, v2
	v_cndmask_b32_e32 v2, v7, v3, vcc
	global_store_short v[4:5], v2, off
	s_mov_b64 s[4:5], 0
.LBB7_1987:
	s_mov_b64 s[8:9], 0
.LBB7_1988:
	s_and_b64 vcc, exec, s[8:9]
	s_cbranch_vccz .LBB7_1990
; %bb.1989:
	v_cmp_ne_u16_e64 s[4:5], 11, v6
	s_mov_b64 s[6:7], -1
.LBB7_1990:
	s_and_b64 vcc, exec, s[4:5]
	s_cbranch_vccnz .LBB7_2045
.LBB7_1991:
	s_mov_b64 s[4:5], 0
	s_branch .LBB7_1993
.LBB7_1992:
	s_mov_b64 s[4:5], 0
	s_mov_b64 s[6:7], 0
                                        ; implicit-def: $vgpr6
                                        ; implicit-def: $vgpr4_vgpr5
                                        ; implicit-def: $vgpr0_vgpr1
.LBB7_1993:
	s_and_b64 s[42:43], s[6:7], exec
	s_andn2_b64 s[6:7], s[46:47], exec
	s_and_b64 s[8:9], s[48:49], exec
	s_and_b64 s[4:5], s[4:5], exec
	s_or_b64 s[46:47], s[6:7], s[8:9]
.LBB7_1994:
	s_or_b64 exec, exec, s[44:45]
	s_and_saveexec_b64 s[6:7], s[46:47]
	s_cbranch_execz .LBB7_1997
; %bb.1995:
	; divergent unreachable
	s_or_b64 exec, exec, s[6:7]
	s_and_saveexec_b64 s[6:7], s[42:43]
	s_xor_b64 s[6:7], exec, s[6:7]
	s_cbranch_execnz .LBB7_1998
.LBB7_1996:
	s_or_b64 exec, exec, s[6:7]
	s_and_saveexec_b64 s[6:7], s[4:5]
	s_cbranch_execnz .LBB7_1999
	s_branch .LBB7_2036
.LBB7_1997:
	s_or_b64 exec, exec, s[6:7]
	s_and_saveexec_b64 s[6:7], s[42:43]
	s_xor_b64 s[6:7], exec, s[6:7]
	s_cbranch_execz .LBB7_1996
.LBB7_1998:
	s_waitcnt vmcnt(0)
	v_cmp_neq_f64_e32 vcc, 0, v[0:1]
	v_cndmask_b32_e64 v2, 0, 1, vcc
	global_store_byte v[4:5], v2, off
	s_or_b64 exec, exec, s[6:7]
	s_and_saveexec_b64 s[6:7], s[4:5]
	s_cbranch_execz .LBB7_2036
.LBB7_1999:
	v_cmp_gt_i16_e32 vcc, 5, v6
	s_mov_b64 s[4:5], -1
	s_cbranch_vccnz .LBB7_2020
; %bb.2000:
	v_cmp_gt_i16_e32 vcc, 8, v6
	s_cbranch_vccnz .LBB7_2010
; %bb.2001:
	v_cmp_gt_i16_e32 vcc, 9, v6
	s_cbranch_vccnz .LBB7_2007
; %bb.2002:
	v_cmp_lt_i16_e32 vcc, 9, v6
	s_cbranch_vccz .LBB7_2004
; %bb.2003:
	s_waitcnt vmcnt(0)
	v_mov_b32_e32 v2, 0
	v_mov_b32_e32 v3, v2
	global_store_dwordx4 v[4:5], v[0:3], off
	s_mov_b64 s[4:5], 0
.LBB7_2004:
	s_andn2_b64 vcc, exec, s[4:5]
	s_cbranch_vccnz .LBB7_2006
; %bb.2005:
	s_waitcnt vmcnt(0)
	v_cvt_f32_f64_e32 v2, v[0:1]
	v_mov_b32_e32 v3, 0
	global_store_dwordx2 v[4:5], v[2:3], off
.LBB7_2006:
	s_mov_b64 s[4:5], 0
.LBB7_2007:
	s_andn2_b64 vcc, exec, s[4:5]
	s_cbranch_vccnz .LBB7_2009
; %bb.2008:
	s_waitcnt vmcnt(0)
	v_cvt_f32_f64_e32 v2, v[0:1]
	v_cvt_f16_f32_e32 v2, v2
	global_store_dword v[4:5], v2, off
.LBB7_2009:
	s_mov_b64 s[4:5], 0
.LBB7_2010:
	s_andn2_b64 vcc, exec, s[4:5]
	s_cbranch_vccnz .LBB7_2019
; %bb.2011:
	v_cmp_gt_i16_e32 vcc, 6, v6
	s_mov_b64 s[4:5], -1
	s_cbranch_vccnz .LBB7_2017
; %bb.2012:
	v_cmp_lt_i16_e32 vcc, 6, v6
	s_cbranch_vccz .LBB7_2014
; %bb.2013:
	s_waitcnt vmcnt(0)
	global_store_dwordx2 v[4:5], v[0:1], off
	s_mov_b64 s[4:5], 0
.LBB7_2014:
	s_andn2_b64 vcc, exec, s[4:5]
	s_cbranch_vccnz .LBB7_2016
; %bb.2015:
	s_waitcnt vmcnt(0)
	v_cvt_f32_f64_e32 v2, v[0:1]
	global_store_dword v[4:5], v2, off
.LBB7_2016:
	s_mov_b64 s[4:5], 0
.LBB7_2017:
	s_andn2_b64 vcc, exec, s[4:5]
	s_cbranch_vccnz .LBB7_2019
; %bb.2018:
	s_waitcnt vmcnt(0)
	v_cvt_f32_f64_e32 v2, v[0:1]
	v_cvt_f16_f32_e32 v2, v2
	global_store_short v[4:5], v2, off
.LBB7_2019:
	s_mov_b64 s[4:5], 0
.LBB7_2020:
	s_andn2_b64 vcc, exec, s[4:5]
	s_cbranch_vccnz .LBB7_2036
; %bb.2021:
	v_cmp_gt_i16_e32 vcc, 2, v6
	s_mov_b64 s[4:5], -1
	s_cbranch_vccnz .LBB7_2031
; %bb.2022:
	v_cmp_gt_i16_e32 vcc, 3, v6
	s_cbranch_vccnz .LBB7_2028
; %bb.2023:
	v_cmp_lt_i16_e32 vcc, 3, v6
	s_cbranch_vccz .LBB7_2025
; %bb.2024:
	s_waitcnt vmcnt(0)
	v_trunc_f64_e32 v[2:3], v[0:1]
	s_movk_i32 s4, 0xffe0
	v_ldexp_f64 v[8:9], v[2:3], s4
	v_floor_f64_e32 v[8:9], v[8:9]
	v_fmac_f64_e32 v[2:3], 0xc1f00000, v[8:9]
	v_cvt_i32_f64_e32 v11, v[8:9]
	v_cvt_u32_f64_e32 v10, v[2:3]
	global_store_dwordx2 v[4:5], v[10:11], off
	s_mov_b64 s[4:5], 0
.LBB7_2025:
	s_andn2_b64 vcc, exec, s[4:5]
	s_cbranch_vccnz .LBB7_2027
; %bb.2026:
	s_waitcnt vmcnt(0)
	v_cvt_i32_f64_e32 v2, v[0:1]
	global_store_dword v[4:5], v2, off
.LBB7_2027:
	s_mov_b64 s[4:5], 0
.LBB7_2028:
	s_andn2_b64 vcc, exec, s[4:5]
	s_cbranch_vccnz .LBB7_2030
; %bb.2029:
	s_waitcnt vmcnt(0)
	v_cvt_i32_f64_e32 v2, v[0:1]
	global_store_short v[4:5], v2, off
.LBB7_2030:
	s_mov_b64 s[4:5], 0
.LBB7_2031:
	s_andn2_b64 vcc, exec, s[4:5]
	s_cbranch_vccnz .LBB7_2036
; %bb.2032:
	v_cmp_lt_i16_e32 vcc, 0, v6
	s_mov_b64 s[4:5], -1
	s_cbranch_vccz .LBB7_2034
; %bb.2033:
	s_waitcnt vmcnt(0)
	v_cvt_i32_f64_e32 v2, v[0:1]
	global_store_byte v[4:5], v2, off
	s_mov_b64 s[4:5], 0
.LBB7_2034:
	s_andn2_b64 vcc, exec, s[4:5]
	s_cbranch_vccnz .LBB7_2036
; %bb.2035:
	s_waitcnt vmcnt(0)
	v_trunc_f64_e32 v[0:1], v[0:1]
	s_movk_i32 s4, 0xffe0
	v_ldexp_f64 v[2:3], v[0:1], s4
	v_floor_f64_e32 v[2:3], v[2:3]
	v_fmac_f64_e32 v[0:1], 0xc1f00000, v[2:3]
	v_cvt_u32_f64_e32 v0, v[0:1]
	global_store_byte v[4:5], v0, off
	s_endpgm
.LBB7_2036:
	s_endpgm
.LBB7_2037:
	s_mov_b64 s[6:7], 0
	s_mov_b64 s[4:5], -1
	s_branch .LBB7_1993
.LBB7_2038:
	s_or_saveexec_b64 s[12:13], s[12:13]
                                        ; implicit-def: $sgpr14
	s_xor_b64 exec, exec, s[12:13]
	s_cbranch_execz .LBB7_1826
.LBB7_2039:
	s_mov_b32 s14, 0x46000000
	v_add_f32_e64 v3, |v2|, s14
	v_and_b32_e32 v3, 0xff, v3
	v_cmp_ne_u32_e32 vcc, 0, v3
	s_andn2_b64 s[10:11], s[10:11], exec
	s_and_b64 s[16:17], vcc, exec
	s_mov_b32 s14, 0
	s_or_b64 s[10:11], s[10:11], s[16:17]
	s_or_b64 exec, exec, s[12:13]
	v_mov_b32_e32 v6, s14
	s_and_saveexec_b64 s[12:13], s[10:11]
	s_cbranch_execnz .LBB7_1827
	s_branch .LBB7_1828
.LBB7_2040:
	s_trap 2
	s_or_b64 s[48:49], s[48:49], exec
	s_cbranch_execz .LBB7_1874
	s_branch .LBB7_1875
.LBB7_2041:
	s_or_saveexec_b64 s[10:11], s[10:11]
                                        ; implicit-def: $sgpr12
	s_xor_b64 exec, exec, s[10:11]
	s_cbranch_execz .LBB7_1839
.LBB7_2042:
	s_mov_b32 s12, 0x42800000
	v_add_f32_e64 v3, |v2|, s12
	v_and_b32_e32 v3, 0xff, v3
	v_cmp_ne_u32_e32 vcc, 0, v3
	s_andn2_b64 s[8:9], s[8:9], exec
	s_and_b64 s[14:15], vcc, exec
	s_mov_b32 s12, 0
	s_or_b64 s[8:9], s[8:9], s[14:15]
	s_or_b64 exec, exec, s[10:11]
	v_mov_b32_e32 v6, s12
	s_and_saveexec_b64 s[10:11], s[8:9]
	s_cbranch_execnz .LBB7_1840
	s_branch .LBB7_1841
.LBB7_2043:
	s_or_saveexec_b64 s[12:13], s[12:13]
                                        ; implicit-def: $sgpr14
	s_xor_b64 exec, exec, s[12:13]
	s_cbranch_execz .LBB7_1945
.LBB7_2044:
	s_mov_b32 s14, 0x46000000
	v_add_f32_e64 v3, |v2|, s14
	v_and_b32_e32 v3, 0xff, v3
	v_cmp_ne_u32_e32 vcc, 0, v3
	s_andn2_b64 s[10:11], s[10:11], exec
	s_and_b64 s[16:17], vcc, exec
	s_mov_b32 s14, 0
	s_or_b64 s[10:11], s[10:11], s[16:17]
	s_or_b64 exec, exec, s[12:13]
	v_mov_b32_e32 v7, s14
	s_and_saveexec_b64 s[12:13], s[10:11]
	s_cbranch_execnz .LBB7_1946
	s_branch .LBB7_1947
.LBB7_2045:
	s_mov_b64 s[6:7], 0
	s_or_b64 s[48:49], s[48:49], exec
	s_trap 2
	s_branch .LBB7_1991
.LBB7_2046:
	s_or_saveexec_b64 s[10:11], s[10:11]
                                        ; implicit-def: $sgpr12
	s_xor_b64 exec, exec, s[10:11]
	s_cbranch_execz .LBB7_1957
.LBB7_2047:
	s_mov_b32 s12, 0x42800000
	v_add_f32_e64 v3, |v2|, s12
	v_and_b32_e32 v3, 0xff, v3
	v_cmp_ne_u32_e32 vcc, 0, v3
	s_andn2_b64 s[8:9], s[8:9], exec
	s_and_b64 s[14:15], vcc, exec
	s_mov_b32 s12, 0
	s_or_b64 s[8:9], s[8:9], s[14:15]
	s_or_b64 exec, exec, s[10:11]
	v_mov_b32_e32 v7, s12
	s_and_saveexec_b64 s[10:11], s[8:9]
	s_cbranch_execnz .LBB7_1958
	s_branch .LBB7_1959
	.section	.rodata,"a",@progbits
	.p2align	6, 0x0
	.amdhsa_kernel _ZN2at6native32elementwise_kernel_manual_unrollILi128ELi4EZNS0_15gpu_kernel_implIZZZNS0_12_GLOBAL__N_121bessel_j1_kernel_cudaERNS_18TensorIteratorBaseEENKUlvE_clEvENKUlvE_clEvEUldE_EEvS5_RKT_EUlibE_EEviT1_
		.amdhsa_group_segment_fixed_size 0
		.amdhsa_private_segment_fixed_size 16
		.amdhsa_kernarg_size 40
		.amdhsa_user_sgpr_count 8
		.amdhsa_user_sgpr_private_segment_buffer 1
		.amdhsa_user_sgpr_dispatch_ptr 0
		.amdhsa_user_sgpr_queue_ptr 0
		.amdhsa_user_sgpr_kernarg_segment_ptr 1
		.amdhsa_user_sgpr_dispatch_id 0
		.amdhsa_user_sgpr_flat_scratch_init 1
		.amdhsa_user_sgpr_kernarg_preload_length 0
		.amdhsa_user_sgpr_kernarg_preload_offset 0
		.amdhsa_user_sgpr_private_segment_size 0
		.amdhsa_uses_dynamic_stack 1
		.amdhsa_system_sgpr_private_segment_wavefront_offset 1
		.amdhsa_system_sgpr_workgroup_id_x 1
		.amdhsa_system_sgpr_workgroup_id_y 0
		.amdhsa_system_sgpr_workgroup_id_z 0
		.amdhsa_system_sgpr_workgroup_info 0
		.amdhsa_system_vgpr_workitem_id 0
		.amdhsa_next_free_vgpr 58
		.amdhsa_next_free_sgpr 63
		.amdhsa_accum_offset 60
		.amdhsa_reserve_vcc 1
		.amdhsa_reserve_flat_scratch 1
		.amdhsa_float_round_mode_32 0
		.amdhsa_float_round_mode_16_64 0
		.amdhsa_float_denorm_mode_32 3
		.amdhsa_float_denorm_mode_16_64 3
		.amdhsa_dx10_clamp 1
		.amdhsa_ieee_mode 1
		.amdhsa_fp16_overflow 0
		.amdhsa_tg_split 0
		.amdhsa_exception_fp_ieee_invalid_op 0
		.amdhsa_exception_fp_denorm_src 0
		.amdhsa_exception_fp_ieee_div_zero 0
		.amdhsa_exception_fp_ieee_overflow 0
		.amdhsa_exception_fp_ieee_underflow 0
		.amdhsa_exception_fp_ieee_inexact 0
		.amdhsa_exception_int_div_zero 0
	.end_amdhsa_kernel
	.section	.text._ZN2at6native32elementwise_kernel_manual_unrollILi128ELi4EZNS0_15gpu_kernel_implIZZZNS0_12_GLOBAL__N_121bessel_j1_kernel_cudaERNS_18TensorIteratorBaseEENKUlvE_clEvENKUlvE_clEvEUldE_EEvS5_RKT_EUlibE_EEviT1_,"axG",@progbits,_ZN2at6native32elementwise_kernel_manual_unrollILi128ELi4EZNS0_15gpu_kernel_implIZZZNS0_12_GLOBAL__N_121bessel_j1_kernel_cudaERNS_18TensorIteratorBaseEENKUlvE_clEvENKUlvE_clEvEUldE_EEvS5_RKT_EUlibE_EEviT1_,comdat
.Lfunc_end7:
	.size	_ZN2at6native32elementwise_kernel_manual_unrollILi128ELi4EZNS0_15gpu_kernel_implIZZZNS0_12_GLOBAL__N_121bessel_j1_kernel_cudaERNS_18TensorIteratorBaseEENKUlvE_clEvENKUlvE_clEvEUldE_EEvS5_RKT_EUlibE_EEviT1_, .Lfunc_end7-_ZN2at6native32elementwise_kernel_manual_unrollILi128ELi4EZNS0_15gpu_kernel_implIZZZNS0_12_GLOBAL__N_121bessel_j1_kernel_cudaERNS_18TensorIteratorBaseEENKUlvE_clEvENKUlvE_clEvEUldE_EEvS5_RKT_EUlibE_EEviT1_
                                        ; -- End function
	.section	.AMDGPU.csdata,"",@progbits
; Kernel info:
; codeLenInByte = 34400
; NumSgprs: 69
; NumVgprs: 58
; NumAgprs: 0
; TotalNumVgprs: 58
; ScratchSize: 16
; MemoryBound: 1
; FloatMode: 240
; IeeeMode: 1
; LDSByteSize: 0 bytes/workgroup (compile time only)
; SGPRBlocks: 8
; VGPRBlocks: 7
; NumSGPRsForWavesPerEU: 69
; NumVGPRsForWavesPerEU: 58
; AccumOffset: 60
; Occupancy: 8
; WaveLimiterHint : 0
; COMPUTE_PGM_RSRC2:SCRATCH_EN: 1
; COMPUTE_PGM_RSRC2:USER_SGPR: 8
; COMPUTE_PGM_RSRC2:TRAP_HANDLER: 0
; COMPUTE_PGM_RSRC2:TGID_X_EN: 1
; COMPUTE_PGM_RSRC2:TGID_Y_EN: 0
; COMPUTE_PGM_RSRC2:TGID_Z_EN: 0
; COMPUTE_PGM_RSRC2:TIDIG_COMP_CNT: 0
; COMPUTE_PGM_RSRC3_GFX90A:ACCUM_OFFSET: 14
; COMPUTE_PGM_RSRC3_GFX90A:TG_SPLIT: 0
	.section	.text._ZN2at6native32elementwise_kernel_manual_unrollILi128ELi4EZNS0_15gpu_kernel_implIZZZNS0_12_GLOBAL__N_121bessel_j1_kernel_cudaERNS_18TensorIteratorBaseEENKUlvE_clEvENKUlvE_clEvEUldE_EEvS5_RKT_EUlibE0_EEviT1_,"axG",@progbits,_ZN2at6native32elementwise_kernel_manual_unrollILi128ELi4EZNS0_15gpu_kernel_implIZZZNS0_12_GLOBAL__N_121bessel_j1_kernel_cudaERNS_18TensorIteratorBaseEENKUlvE_clEvENKUlvE_clEvEUldE_EEvS5_RKT_EUlibE0_EEviT1_,comdat
	.globl	_ZN2at6native32elementwise_kernel_manual_unrollILi128ELi4EZNS0_15gpu_kernel_implIZZZNS0_12_GLOBAL__N_121bessel_j1_kernel_cudaERNS_18TensorIteratorBaseEENKUlvE_clEvENKUlvE_clEvEUldE_EEvS5_RKT_EUlibE0_EEviT1_ ; -- Begin function _ZN2at6native32elementwise_kernel_manual_unrollILi128ELi4EZNS0_15gpu_kernel_implIZZZNS0_12_GLOBAL__N_121bessel_j1_kernel_cudaERNS_18TensorIteratorBaseEENKUlvE_clEvENKUlvE_clEvEUldE_EEvS5_RKT_EUlibE0_EEviT1_
	.p2align	8
	.type	_ZN2at6native32elementwise_kernel_manual_unrollILi128ELi4EZNS0_15gpu_kernel_implIZZZNS0_12_GLOBAL__N_121bessel_j1_kernel_cudaERNS_18TensorIteratorBaseEENKUlvE_clEvENKUlvE_clEvEUldE_EEvS5_RKT_EUlibE0_EEviT1_,@function
_ZN2at6native32elementwise_kernel_manual_unrollILi128ELi4EZNS0_15gpu_kernel_implIZZZNS0_12_GLOBAL__N_121bessel_j1_kernel_cudaERNS_18TensorIteratorBaseEENKUlvE_clEvENKUlvE_clEvEUldE_EEvS5_RKT_EUlibE0_EEviT1_: ; @_ZN2at6native32elementwise_kernel_manual_unrollILi128ELi4EZNS0_15gpu_kernel_implIZZZNS0_12_GLOBAL__N_121bessel_j1_kernel_cudaERNS_18TensorIteratorBaseEENKUlvE_clEvENKUlvE_clEvEUldE_EEvS5_RKT_EUlibE0_EEviT1_
; %bb.0:
	s_load_dword s84, s[4:5], 0x0
	s_load_dword s82, s[4:5], 0x8
	s_add_u32 flat_scratch_lo, s6, s9
	s_addc_u32 flat_scratch_hi, s7, 0
	s_add_u32 s0, s0, s9
	s_mov_b64 s[36:37], s[4:5]
	s_addc_u32 s1, s1, 0
	s_or_b32 s38, s36, 8
	v_lshl_or_b32 v45, s8, 9, v0
	s_waitcnt lgkmcnt(0)
	s_add_i32 s83, s82, -1
	v_or_b32_e32 v3, 0x180, v45
	s_cmp_gt_u32 s83, 1
	s_mov_b32 s39, s5
	v_cmp_le_i32_e32 vcc, s84, v3
	s_cselect_b64 s[54:55], -1, 0
	s_mov_b64 s[52:53], 0
	s_mov_b64 s[44:45], 0
	s_mov_b32 s32, 0
	s_and_saveexec_b64 s[4:5], vcc
	s_xor_b64 s[56:57], exec, s[4:5]
	s_cbranch_execz .LBB8_1090
; %bb.1:
	v_mov_b32_e32 v0, 0
	global_load_ushort v41, v0, s[38:39] offset:345
	s_load_dwordx4 s[48:51], s[38:39], 0x4
	s_load_dwordx2 s[58:59], s[38:39], 0x14
	s_load_dwordx4 s[44:47], s[38:39], 0xc4
	s_load_dwordx4 s[40:43], s[38:39], 0x148
	s_cmp_lg_u32 s82, 0
	s_cselect_b64 s[64:65], -1, 0
	s_add_u32 s62, s38, 0xc4
	s_addc_u32 s63, s39, 0
	s_min_u32 s85, s83, 15
	s_cmp_gt_u32 s82, 1
	v_cmp_gt_i32_e32 vcc, s84, v45
	s_mov_b64 s[6:7], -1
	s_mov_b64 s[74:75], 0
	s_mov_b64 s[68:69], 0
	s_cselect_b64 s[60:61], -1, 0
	s_mov_b64 s[66:67], 0
	s_waitcnt vmcnt(0)
	v_lshrrev_b16_e32 v44, 8, v41
	s_and_saveexec_b64 s[70:71], vcc
	s_cbranch_execz .LBB8_267
; %bb.2:
	s_andn2_b64 vcc, exec, s[54:55]
	s_cbranch_vccnz .LBB8_8
; %bb.3:
	s_mov_b32 s24, 0
	s_andn2_b64 vcc, exec, s[64:65]
	v_mov_b32_e32 v0, 0
	v_mov_b32_e32 v42, 0
	s_cbranch_vccnz .LBB8_14
; %bb.4:
	s_add_i32 s30, s85, 1
	s_cmp_eq_u32 s83, 2
	s_cbranch_scc1 .LBB8_9
; %bb.5:
	s_and_b32 s24, s30, 28
	s_mov_b32 s25, 0
	v_mov_b32_e32 v42, 0
	s_mov_b64 s[26:27], s[38:39]
	s_mov_b64 s[28:29], s[62:63]
	v_mov_b32_e32 v1, v45
	v_mov_b32_e32 v0, 0
.LBB8_6:                                ; =>This Inner Loop Header: Depth=1
	s_load_dwordx8 s[12:19], s[26:27], 0x4
	s_load_dwordx4 s[20:23], s[26:27], 0x24
	s_load_dwordx8 s[4:11], s[28:29], 0x0
	s_add_u32 s26, s26, 48
	s_addc_u32 s27, s27, 0
	s_waitcnt lgkmcnt(0)
	v_mul_hi_u32 v2, s13, v1
	v_add_u32_e32 v2, v1, v2
	v_lshrrev_b32_e32 v2, s14, v2
	v_mul_lo_u32 v3, v2, s12
	v_mul_hi_u32 v4, s16, v2
	v_sub_u32_e32 v1, v1, v3
	v_add_u32_e32 v3, v2, v4
	v_lshrrev_b32_e32 v3, s17, v3
	v_mul_lo_u32 v5, v3, s15
	v_mul_hi_u32 v6, s19, v3
	v_sub_u32_e32 v2, v2, v5
	v_add_u32_e32 v5, v3, v6
	v_mul_lo_u32 v4, v1, s5
	v_mul_lo_u32 v1, v1, s4
	;; [unrolled: 1-line block ×4, first 2 shown]
	v_lshrrev_b32_e32 v5, s20, v5
	v_add3_u32 v2, v1, v42, v2
	v_add3_u32 v0, v4, v0, v6
	v_mul_lo_u32 v1, v5, s18
	v_mul_hi_u32 v4, s22, v5
	v_sub_u32_e32 v1, v3, v1
	v_add_u32_e32 v3, v5, v4
	v_mul_lo_u32 v4, v1, s8
	v_mul_lo_u32 v6, v1, s9
	v_lshrrev_b32_e32 v1, s23, v3
	s_add_i32 s25, s25, 4
	v_mul_lo_u32 v3, v1, s21
	s_add_u32 s28, s28, 32
	v_sub_u32_e32 v3, v5, v3
	s_addc_u32 s29, s29, 0
	v_mul_lo_u32 v5, v3, s10
	v_mul_lo_u32 v3, v3, s11
	s_cmp_lg_u32 s24, s25
	v_add3_u32 v0, v6, v0, v3
	v_add3_u32 v42, v4, v2, v5
	s_cbranch_scc1 .LBB8_6
; %bb.7:
	v_mov_b32_e32 v43, v0
	s_branch .LBB8_10
.LBB8_8:
                                        ; implicit-def: $vgpr0
                                        ; implicit-def: $vgpr42
	s_branch .LBB8_15
.LBB8_9:
	s_mov_b32 s25, s24
	v_pk_mov_b32 v[42:43], s[24:25], s[24:25] op_sel:[0,1]
                                        ; implicit-def: $vgpr0
	v_mov_b32_e32 v1, v45
.LBB8_10:
	s_and_b32 s8, s30, 3
	s_cmp_eq_u32 s8, 0
	s_cbranch_scc1 .LBB8_14
; %bb.11:
	s_lshl_b32 s4, s24, 3
	s_add_u32 s4, s4, s38
	s_addc_u32 s5, s39, 0
	s_add_u32 s4, s4, 0xc4
	s_addc_u32 s5, s5, 0
	s_mul_i32 s6, s24, 12
	s_add_u32 s6, s38, s6
	s_addc_u32 s7, s39, 0
.LBB8_12:                               ; =>This Inner Loop Header: Depth=1
	s_load_dwordx2 s[10:11], s[6:7], 0x4
	s_load_dword s9, s[6:7], 0xc
	s_load_dwordx2 s[12:13], s[4:5], 0x0
	s_add_u32 s6, s6, 12
	s_addc_u32 s7, s7, 0
	s_waitcnt lgkmcnt(0)
	v_mul_hi_u32 v2, s11, v1
	v_add_u32_e32 v2, v1, v2
	v_lshrrev_b32_e32 v2, s9, v2
	v_mul_lo_u32 v3, v2, s10
	v_mov_b32_e32 v0, v43
	s_add_u32 s4, s4, 8
	v_sub_u32_e32 v4, v1, v3
	v_mov_b32_e32 v1, v2
	s_addc_u32 s5, s5, 0
	s_add_i32 s8, s8, -1
	v_mad_u64_u32 v[2:3], s[10:11], v4, s13, v[0:1]
	v_mad_u64_u32 v[42:43], s[10:11], v4, s12, v[42:43]
	s_cmp_lg_u32 s8, 0
	v_mov_b32_e32 v43, v2
	s_cbranch_scc1 .LBB8_12
; %bb.13:
	v_mov_b32_e32 v0, v43
.LBB8_14:
	s_cbranch_execnz .LBB8_17
.LBB8_15:
	s_waitcnt lgkmcnt(0)
	v_mul_hi_u32 v0, s49, v45
	v_add_u32_e32 v0, v45, v0
	v_lshrrev_b32_e32 v1, s50, v0
	v_mul_lo_u32 v0, v1, s48
	v_sub_u32_e32 v2, v45, v0
	v_mul_lo_u32 v0, v2, s45
	s_andn2_b64 vcc, exec, s[60:61]
	v_mul_lo_u32 v42, v2, s44
	s_cbranch_vccnz .LBB8_17
; %bb.16:
	v_mul_hi_u32 v2, s58, v1
	v_add_u32_e32 v2, v1, v2
	v_lshrrev_b32_e32 v2, s59, v2
	v_mul_lo_u32 v2, v2, s51
	v_sub_u32_e32 v1, v1, v2
	v_mad_u64_u32 v[42:43], s[4:5], v1, s46, v[42:43]
	v_mad_u64_u32 v[0:1], s[4:5], v1, s47, v[0:1]
.LBB8_17:
	s_waitcnt lgkmcnt(0)
	v_mov_b32_e32 v1, s43
	v_add_co_u32_e32 v2, vcc, s42, v0
	v_addc_co_u32_e32 v3, vcc, 0, v1, vcc
	v_cmp_gt_i16_e32 vcc, 11, v44
	s_cbranch_vccnz .LBB8_24
; %bb.18:
	v_cmp_lt_i16_e32 vcc, 25, v44
	s_cbranch_vccz .LBB8_33
; %bb.19:
	v_cmp_lt_i16_e32 vcc, 28, v44
	s_cbranch_vccz .LBB8_36
	;; [unrolled: 3-line block ×4, first 2 shown]
; %bb.22:
	v_cmp_eq_u16_e32 vcc, 46, v44
	s_mov_b64 s[6:7], 0
	s_cbranch_vccz .LBB8_42
; %bb.23:
	global_load_dword v0, v[2:3], off
	s_mov_b64 s[4:5], -1
	s_mov_b64 s[68:69], 0
	s_waitcnt vmcnt(0)
	v_lshlrev_b32_e32 v0, 16, v0
	v_cvt_f64_f32_e32 v[0:1], v0
	s_branch .LBB8_44
.LBB8_24:
	s_mov_b64 s[68:69], 0
                                        ; implicit-def: $vgpr0_vgpr1
	s_mov_b64 s[4:5], 0
	s_cbranch_execnz .LBB8_217
.LBB8_25:
	s_andn2_b64 vcc, exec, s[4:5]
	s_cbranch_vccnz .LBB8_264
.LBB8_26:
	s_getpc_b64 s[4:5]
	s_add_u32 s4, s4, _Z17bessel_j1_forwardIdET_S0_@rel32@lo+4
	s_addc_u32 s5, s5, _Z17bessel_j1_forwardIdET_S0_@rel32@hi+12
	s_swappc_b64 s[30:31], s[4:5]
	v_mov_b32_e32 v2, s41
	v_add_co_u32_e32 v4, vcc, s40, v42
	v_addc_co_u32_e32 v5, vcc, 0, v2, vcc
	v_mov_b32_e32 v2, 11
	v_cmp_lt_i16_sdwa s[4:5], v41, v2 src0_sel:BYTE_0 src1_sel:DWORD
	s_and_b64 vcc, exec, s[4:5]
	s_cbranch_vccnz .LBB8_34
; %bb.27:
	v_mov_b32_e32 v2, 25
	v_cmp_gt_i16_sdwa s[4:5], v41, v2 src0_sel:BYTE_0 src1_sel:DWORD
	s_and_b64 vcc, exec, s[4:5]
	s_cbranch_vccz .LBB8_37
; %bb.28:
	v_mov_b32_e32 v2, 28
	v_cmp_gt_i16_sdwa s[4:5], v41, v2 src0_sel:BYTE_0 src1_sel:DWORD
	s_and_b64 vcc, exec, s[4:5]
	s_cbranch_vccz .LBB8_39
	;; [unrolled: 5-line block ×4, first 2 shown]
; %bb.31:
	v_mov_b32_e32 v2, 46
	v_cmp_eq_u16_sdwa s[6:7], v41, v2 src0_sel:BYTE_0 src1_sel:DWORD
	s_mov_b64 s[8:9], 0
	s_mov_b64 s[4:5], -1
	s_and_b64 vcc, exec, s[6:7]
	s_mov_b64 s[6:7], 0
	s_cbranch_vccz .LBB8_48
; %bb.32:
	v_cvt_f32_f64_e32 v2, v[0:1]
	v_bfe_u32 v3, v2, 16, 1
	s_movk_i32 s4, 0x7fff
	v_add3_u32 v3, v2, v3, s4
	v_lshrrev_b32_e32 v3, 16, v3
	v_mov_b32_e32 v6, 0x7fc0
	v_cmp_o_f32_e32 vcc, v2, v2
	v_cndmask_b32_e32 v2, v6, v3, vcc
	global_store_dword v[4:5], v2, off
	s_mov_b64 s[6:7], -1
	s_mov_b64 s[4:5], 0
	s_branch .LBB8_48
.LBB8_33:
	s_mov_b64 s[68:69], 0
	s_mov_b64 s[4:5], 0
                                        ; implicit-def: $vgpr0_vgpr1
	s_cbranch_execnz .LBB8_182
	s_branch .LBB8_216
.LBB8_34:
	s_mov_b64 s[4:5], 0
	s_mov_b64 s[6:7], 0
	s_cbranch_execnz .LBB8_117
.LBB8_35:
	s_andn2_b64 vcc, exec, s[6:7]
	s_cbranch_vccnz .LBB8_265
	s_branch .LBB8_155
.LBB8_36:
	s_mov_b64 s[6:7], -1
	s_mov_b64 s[68:69], 0
	s_mov_b64 s[4:5], 0
                                        ; implicit-def: $vgpr0_vgpr1
	s_branch .LBB8_163
.LBB8_37:
	s_mov_b64 s[8:9], -1
	s_mov_b64 s[4:5], 0
	s_mov_b64 s[6:7], 0
	s_branch .LBB8_75
.LBB8_38:
	s_mov_b64 s[6:7], -1
	s_mov_b64 s[68:69], 0
	s_mov_b64 s[4:5], 0
                                        ; implicit-def: $vgpr0_vgpr1
	s_branch .LBB8_158
.LBB8_39:
	s_mov_b64 s[8:9], -1
	s_mov_b64 s[4:5], 0
	s_mov_b64 s[6:7], 0
	s_branch .LBB8_58
.LBB8_40:
	s_mov_b64 s[6:7], -1
	s_mov_b64 s[68:69], 0
	s_branch .LBB8_43
.LBB8_41:
	s_mov_b64 s[8:9], -1
	s_mov_b64 s[4:5], 0
	s_mov_b64 s[6:7], 0
	s_branch .LBB8_54
.LBB8_42:
	s_mov_b64 s[68:69], -1
.LBB8_43:
	s_mov_b64 s[4:5], 0
                                        ; implicit-def: $vgpr0_vgpr1
.LBB8_44:
	s_and_b64 vcc, exec, s[6:7]
	s_cbranch_vccz .LBB8_157
; %bb.45:
	v_cmp_eq_u16_e32 vcc, 44, v44
	s_cbranch_vccz .LBB8_156
; %bb.46:
	global_load_ubyte v4, v[2:3], off
	s_movk_i32 s6, 0xff
	v_bfrev_b32_e32 v5, 4
	v_mov_b32_e32 v6, 0x7ff80000
	v_bfrev_b32_e32 v7, 28
	s_mov_b64 s[4:5], -1
	s_mov_b64 s[68:69], 0
	s_waitcnt vmcnt(0)
	v_lshlrev_b32_e32 v0, 23, v4
	v_cvt_f64_f32_e32 v[0:1], v0
	v_cmp_ne_u32_e32 vcc, s6, v4
	v_cndmask_b32_e32 v0, v5, v0, vcc
	v_cndmask_b32_e32 v1, v6, v1, vcc
	v_cmp_ne_u32_e32 vcc, 0, v4
	v_cndmask_b32_e32 v1, v7, v1, vcc
	v_cndmask_b32_e32 v0, 0, v0, vcc
	s_branch .LBB8_157
.LBB8_47:
	s_mov_b64 s[8:9], -1
	s_mov_b64 s[4:5], 0
	s_mov_b64 s[6:7], 0
.LBB8_48:
	s_and_b64 vcc, exec, s[8:9]
	s_cbranch_vccz .LBB8_53
; %bb.49:
	v_mov_b32_e32 v2, 44
	v_cmp_eq_u16_sdwa s[8:9], v41, v2 src0_sel:BYTE_0 src1_sel:DWORD
	s_mov_b64 s[4:5], -1
	s_and_b64 vcc, exec, s[8:9]
	s_cbranch_vccz .LBB8_53
; %bb.50:
	v_cvt_f32_f64_e32 v2, v[0:1]
	v_bfe_u32 v3, v2, 23, 8
	s_movk_i32 s4, 0xff
	v_cmp_ne_u32_e32 vcc, s4, v3
	v_mov_b32_e32 v6, 0xff
	s_and_saveexec_b64 s[6:7], vcc
; %bb.51:
	s_mov_b32 s4, 0x3fffff
	v_lshrrev_b32_e32 v6, 23, v2
	v_and_b32_e32 v7, 0x400000, v2
	v_and_or_b32 v2, v2, s4, v3
	v_cmp_ne_u32_e32 vcc, 0, v7
	v_cmp_ne_u32_e64 s[4:5], 0, v2
	s_and_b64 s[4:5], vcc, s[4:5]
	v_cndmask_b32_e64 v2, 0, 1, s[4:5]
	v_add_u32_e32 v6, v6, v2
; %bb.52:
	s_or_b64 exec, exec, s[6:7]
	s_mov_b64 s[6:7], -1
	s_mov_b64 s[4:5], 0
	global_store_byte v[4:5], v6, off
.LBB8_53:
	s_mov_b64 s[8:9], 0
.LBB8_54:
	s_and_b64 vcc, exec, s[8:9]
	s_cbranch_vccz .LBB8_57
; %bb.55:
	v_mov_b32_e32 v2, 29
	v_cmp_eq_u16_sdwa s[8:9], v41, v2 src0_sel:BYTE_0 src1_sel:DWORD
	s_mov_b64 s[4:5], -1
	s_and_b64 vcc, exec, s[8:9]
	s_cbranch_vccz .LBB8_57
; %bb.56:
	v_trunc_f64_e32 v[2:3], v[0:1]
	s_movk_i32 s4, 0xffe0
	v_ldexp_f64 v[6:7], v[2:3], s4
	v_floor_f64_e32 v[6:7], v[6:7]
	v_fmac_f64_e32 v[2:3], 0xc1f00000, v[6:7]
	v_cvt_u32_f64_e32 v9, v[6:7]
	v_cvt_u32_f64_e32 v8, v[2:3]
	global_store_dwordx2 v[4:5], v[8:9], off
	s_mov_b64 s[6:7], -1
	s_mov_b64 s[4:5], 0
.LBB8_57:
	s_mov_b64 s[8:9], 0
.LBB8_58:
	s_and_b64 vcc, exec, s[8:9]
	s_cbranch_vccz .LBB8_74
; %bb.59:
	v_mov_b32_e32 v2, 27
	v_cmp_lt_i16_sdwa s[8:9], v41, v2 src0_sel:BYTE_0 src1_sel:DWORD
	s_mov_b64 s[6:7], -1
	s_and_b64 vcc, exec, s[8:9]
	s_cbranch_vccnz .LBB8_65
; %bb.60:
	v_cmp_gt_i16_sdwa s[8:9], v41, v2 src0_sel:BYTE_0 src1_sel:DWORD
	s_and_b64 vcc, exec, s[8:9]
	v_cvt_u32_f64_e32 v2, v[0:1]
	s_cbranch_vccz .LBB8_62
; %bb.61:
	s_mov_b64 s[6:7], 0
	global_store_dword v[4:5], v2, off
.LBB8_62:
	s_andn2_b64 vcc, exec, s[6:7]
	s_cbranch_vccnz .LBB8_64
; %bb.63:
	global_store_short v[4:5], v2, off
.LBB8_64:
	s_mov_b64 s[6:7], 0
.LBB8_65:
	s_andn2_b64 vcc, exec, s[6:7]
	s_cbranch_vccnz .LBB8_73
; %bb.66:
	v_cvt_f32_f64_e32 v2, v[0:1]
	v_and_b32_e32 v3, 0x7fffffff, v2
	s_mov_b32 s6, 0x43800000
	v_cmp_gt_u32_e32 vcc, s6, v3
	v_mov_b32_e32 v6, 0x80
	s_and_saveexec_b64 s[6:7], vcc
	s_cbranch_execz .LBB8_72
; %bb.67:
	s_mov_b32 s8, 0x3bffffff
	v_cmp_lt_u32_e32 vcc, s8, v3
	s_mov_b64 s[8:9], 0
                                        ; implicit-def: $vgpr3
	s_and_saveexec_b64 s[10:11], vcc
	s_xor_b64 s[10:11], exec, s[10:11]
	s_cbranch_execz .LBB8_309
; %bb.68:
	v_bfe_u32 v3, v2, 20, 1
	s_mov_b32 s12, 0x487ffff
	v_add3_u32 v3, v2, v3, s12
	s_mov_b64 s[8:9], exec
	v_lshrrev_b32_e32 v3, 20, v3
	s_or_saveexec_b64 s[10:11], s[10:11]
                                        ; implicit-def: $sgpr12
	s_xor_b64 exec, exec, s[10:11]
	s_cbranch_execnz .LBB8_310
.LBB8_69:
	s_or_b64 exec, exec, s[10:11]
	v_mov_b32_e32 v6, s12
	s_and_saveexec_b64 s[10:11], s[8:9]
.LBB8_70:
	v_lshrrev_b32_e32 v2, 24, v2
	s_movk_i32 s8, 0x80
	v_and_or_b32 v6, v2, s8, v3
.LBB8_71:
	s_or_b64 exec, exec, s[10:11]
.LBB8_72:
	s_or_b64 exec, exec, s[6:7]
	global_store_byte v[4:5], v6, off
.LBB8_73:
	s_mov_b64 s[6:7], -1
.LBB8_74:
	s_mov_b64 s[8:9], 0
.LBB8_75:
	s_and_b64 vcc, exec, s[8:9]
	s_cbranch_vccz .LBB8_116
; %bb.76:
	v_mov_b32_e32 v2, 22
	v_cmp_gt_i16_sdwa s[10:11], v41, v2 src0_sel:BYTE_0 src1_sel:DWORD
	s_mov_b64 s[8:9], -1
	s_and_b64 vcc, exec, s[10:11]
	s_cbranch_vccz .LBB8_108
; %bb.77:
	v_mov_b32_e32 v2, 24
	v_cmp_lt_i16_sdwa s[8:9], v41, v2 src0_sel:BYTE_0 src1_sel:DWORD
	s_mov_b64 s[6:7], -1
	s_and_b64 vcc, exec, s[8:9]
	s_cbranch_vccnz .LBB8_97
; %bb.78:
	v_cmp_gt_i16_sdwa s[8:9], v41, v2 src0_sel:BYTE_0 src1_sel:DWORD
	s_and_b64 vcc, exec, s[8:9]
	s_cbranch_vccz .LBB8_86
; %bb.79:
	v_cvt_f32_f64_e32 v2, v[0:1]
	v_and_b32_e32 v3, 0x7fffffff, v2
	s_mov_b32 s6, 0x47800000
	v_cmp_gt_u32_e32 vcc, s6, v3
	v_mov_b32_e32 v6, 0x80
	s_and_saveexec_b64 s[6:7], vcc
	s_cbranch_execz .LBB8_85
; %bb.80:
	s_mov_b32 s8, 0x37ffffff
	v_cmp_lt_u32_e32 vcc, s8, v3
	s_mov_b64 s[8:9], 0
                                        ; implicit-def: $vgpr3
	s_and_saveexec_b64 s[10:11], vcc
	s_xor_b64 s[10:11], exec, s[10:11]
	s_cbranch_execz .LBB8_313
; %bb.81:
	v_bfe_u32 v3, v2, 21, 1
	s_mov_b32 s12, 0x88fffff
	v_add3_u32 v3, v2, v3, s12
	s_mov_b64 s[8:9], exec
	v_lshrrev_b32_e32 v3, 21, v3
	s_or_saveexec_b64 s[10:11], s[10:11]
                                        ; implicit-def: $sgpr12
	s_xor_b64 exec, exec, s[10:11]
	s_cbranch_execnz .LBB8_314
.LBB8_82:
	s_or_b64 exec, exec, s[10:11]
	v_mov_b32_e32 v6, s12
	s_and_saveexec_b64 s[10:11], s[8:9]
.LBB8_83:
	v_lshrrev_b32_e32 v2, 24, v2
	s_movk_i32 s8, 0x80
	v_and_or_b32 v6, v2, s8, v3
.LBB8_84:
	s_or_b64 exec, exec, s[10:11]
.LBB8_85:
	s_or_b64 exec, exec, s[6:7]
	s_mov_b64 s[6:7], 0
	global_store_byte v[4:5], v6, off
.LBB8_86:
	s_and_b64 vcc, exec, s[6:7]
	s_cbranch_vccz .LBB8_96
; %bb.87:
	v_cvt_f32_f64_e32 v2, v[0:1]
	v_and_b32_e32 v6, 0x7fffffff, v2
	s_mov_b32 s6, 0x43f00000
	v_cmp_gt_u32_e32 vcc, s6, v6
                                        ; implicit-def: $vgpr3
	s_and_saveexec_b64 s[6:7], vcc
	s_xor_b64 s[6:7], exec, s[6:7]
	s_cbranch_execz .LBB8_93
; %bb.88:
	s_mov_b32 s8, 0x3c7fffff
	v_cmp_lt_u32_e32 vcc, s8, v6
                                        ; implicit-def: $vgpr3
	s_and_saveexec_b64 s[8:9], vcc
	s_xor_b64 s[8:9], exec, s[8:9]
; %bb.89:
	v_bfe_u32 v3, v2, 20, 1
	s_mov_b32 s10, 0x407ffff
	v_add3_u32 v3, v2, v3, s10
	v_lshrrev_b32_e32 v6, 20, v3
	v_and_b32_e32 v3, 0xff00000, v3
	s_mov_b32 s10, 0x7f00000
	v_mov_b32_e32 v7, 0x7e
	v_cmp_ne_u32_e32 vcc, s10, v3
	v_cndmask_b32_e32 v3, v7, v6, vcc
; %bb.90:
	s_andn2_saveexec_b64 s[8:9], s[8:9]
; %bb.91:
	s_mov_b32 s10, 0x46800000
	v_add_f32_e64 v3, |v2|, s10
; %bb.92:
	s_or_b64 exec, exec, s[8:9]
                                        ; implicit-def: $vgpr6
.LBB8_93:
	s_andn2_saveexec_b64 s[6:7], s[6:7]
; %bb.94:
	s_mov_b32 s8, 0x7f800000
	v_mov_b32_e32 v3, 0x7e
	v_mov_b32_e32 v7, 0x7f
	v_cmp_lt_u32_e32 vcc, s8, v6
	v_cndmask_b32_e32 v3, v3, v7, vcc
; %bb.95:
	s_or_b64 exec, exec, s[6:7]
	v_lshrrev_b32_e32 v2, 24, v2
	s_movk_i32 s6, 0x80
	v_and_or_b32 v2, v2, s6, v3
	global_store_byte v[4:5], v2, off
.LBB8_96:
	s_mov_b64 s[6:7], 0
.LBB8_97:
	s_andn2_b64 vcc, exec, s[6:7]
	s_cbranch_vccnz .LBB8_107
; %bb.98:
	v_cvt_f32_f64_e32 v2, v[0:1]
	v_and_b32_e32 v6, 0x7fffffff, v2
	s_mov_b32 s6, 0x47800000
	v_cmp_gt_u32_e32 vcc, s6, v6
                                        ; implicit-def: $vgpr3
	s_and_saveexec_b64 s[6:7], vcc
	s_xor_b64 s[6:7], exec, s[6:7]
	s_cbranch_execz .LBB8_104
; %bb.99:
	s_mov_b32 s8, 0x387fffff
	v_cmp_lt_u32_e32 vcc, s8, v6
                                        ; implicit-def: $vgpr3
	s_and_saveexec_b64 s[8:9], vcc
	s_xor_b64 s[8:9], exec, s[8:9]
; %bb.100:
	v_bfe_u32 v3, v2, 21, 1
	s_mov_b32 s10, 0x80fffff
	v_add3_u32 v3, v2, v3, s10
	v_lshrrev_b32_e32 v3, 21, v3
; %bb.101:
	s_andn2_saveexec_b64 s[8:9], s[8:9]
; %bb.102:
	s_mov_b32 s10, 0x43000000
	v_add_f32_e64 v3, |v2|, s10
; %bb.103:
	s_or_b64 exec, exec, s[8:9]
                                        ; implicit-def: $vgpr6
.LBB8_104:
	s_andn2_saveexec_b64 s[6:7], s[6:7]
; %bb.105:
	s_mov_b32 s8, 0x7f800000
	v_mov_b32_e32 v3, 0x7c
	v_mov_b32_e32 v7, 0x7f
	v_cmp_lt_u32_e32 vcc, s8, v6
	v_cndmask_b32_e32 v3, v3, v7, vcc
; %bb.106:
	s_or_b64 exec, exec, s[6:7]
	v_lshrrev_b32_e32 v2, 24, v2
	s_movk_i32 s6, 0x80
	v_and_or_b32 v2, v2, s6, v3
	global_store_byte v[4:5], v2, off
.LBB8_107:
	s_mov_b64 s[8:9], 0
	s_mov_b64 s[6:7], -1
.LBB8_108:
	s_andn2_b64 vcc, exec, s[8:9]
	s_cbranch_vccnz .LBB8_116
; %bb.109:
	v_mov_b32_e32 v2, 14
	v_cmp_gt_i16_sdwa s[10:11], v41, v2 src0_sel:BYTE_0 src1_sel:DWORD
	s_mov_b64 s[8:9], -1
	s_and_b64 vcc, exec, s[10:11]
	s_cbranch_vccz .LBB8_113
; %bb.110:
	v_mov_b32_e32 v2, 15
	v_cmp_eq_u16_sdwa s[8:9], v41, v2 src0_sel:BYTE_0 src1_sel:DWORD
	s_mov_b64 s[4:5], -1
	s_and_b64 vcc, exec, s[8:9]
	s_cbranch_vccz .LBB8_112
; %bb.111:
	v_cvt_f32_f64_e32 v2, v[0:1]
	v_bfe_u32 v3, v2, 16, 1
	s_movk_i32 s4, 0x7fff
	v_add3_u32 v3, v2, v3, s4
	v_lshrrev_b32_e32 v3, 16, v3
	v_mov_b32_e32 v6, 0x7fc0
	v_cmp_o_f32_e32 vcc, v2, v2
	v_cndmask_b32_e32 v2, v6, v3, vcc
	global_store_short v[4:5], v2, off
	s_mov_b64 s[6:7], -1
	s_mov_b64 s[4:5], 0
.LBB8_112:
	s_mov_b64 s[8:9], 0
.LBB8_113:
	s_and_b64 vcc, exec, s[8:9]
	s_cbranch_vccz .LBB8_116
; %bb.114:
	v_mov_b32_e32 v2, 11
	v_cmp_eq_u16_sdwa s[8:9], v41, v2 src0_sel:BYTE_0 src1_sel:DWORD
	s_mov_b64 s[4:5], -1
	s_and_b64 vcc, exec, s[8:9]
	s_cbranch_vccz .LBB8_116
; %bb.115:
	v_cmp_neq_f64_e32 vcc, 0, v[0:1]
	s_mov_b64 s[4:5], 0
	v_cndmask_b32_e64 v2, 0, 1, vcc
	s_mov_b64 s[6:7], -1
	global_store_byte v[4:5], v2, off
.LBB8_116:
	s_branch .LBB8_35
.LBB8_117:
	v_mov_b32_e32 v2, 5
	v_cmp_lt_i16_sdwa s[8:9], v41, v2 src0_sel:BYTE_0 src1_sel:DWORD
	s_mov_b64 s[6:7], -1
	s_and_b64 vcc, exec, s[8:9]
	s_cbranch_vccnz .LBB8_138
; %bb.118:
	v_mov_b32_e32 v2, 8
	v_cmp_lt_i16_sdwa s[8:9], v41, v2 src0_sel:BYTE_0 src1_sel:DWORD
	s_and_b64 vcc, exec, s[8:9]
	s_cbranch_vccnz .LBB8_128
; %bb.119:
	v_mov_b32_e32 v2, 9
	v_cmp_lt_i16_sdwa s[8:9], v41, v2 src0_sel:BYTE_0 src1_sel:DWORD
	s_and_b64 vcc, exec, s[8:9]
	s_cbranch_vccnz .LBB8_125
; %bb.120:
	v_cmp_gt_i16_sdwa s[8:9], v41, v2 src0_sel:BYTE_0 src1_sel:DWORD
	s_and_b64 vcc, exec, s[8:9]
	s_cbranch_vccz .LBB8_122
; %bb.121:
	v_mov_b32_e32 v2, 0
	v_mov_b32_e32 v3, v2
	global_store_dwordx4 v[4:5], v[0:3], off
	s_mov_b64 s[6:7], 0
.LBB8_122:
	s_andn2_b64 vcc, exec, s[6:7]
	s_cbranch_vccnz .LBB8_124
; %bb.123:
	v_cvt_f32_f64_e32 v2, v[0:1]
	v_mov_b32_e32 v3, 0
	global_store_dwordx2 v[4:5], v[2:3], off
.LBB8_124:
	s_mov_b64 s[6:7], 0
.LBB8_125:
	s_andn2_b64 vcc, exec, s[6:7]
	s_cbranch_vccnz .LBB8_127
; %bb.126:
	v_cvt_f32_f64_e32 v2, v[0:1]
	v_cvt_f16_f32_e32 v2, v2
	global_store_dword v[4:5], v2, off
.LBB8_127:
	s_mov_b64 s[6:7], 0
.LBB8_128:
	s_andn2_b64 vcc, exec, s[6:7]
	s_cbranch_vccnz .LBB8_137
; %bb.129:
	v_mov_b32_e32 v2, 6
	v_cmp_lt_i16_sdwa s[8:9], v41, v2 src0_sel:BYTE_0 src1_sel:DWORD
	s_mov_b64 s[6:7], -1
	s_and_b64 vcc, exec, s[8:9]
	s_cbranch_vccnz .LBB8_135
; %bb.130:
	v_cmp_gt_i16_sdwa s[8:9], v41, v2 src0_sel:BYTE_0 src1_sel:DWORD
	s_and_b64 vcc, exec, s[8:9]
	s_cbranch_vccz .LBB8_132
; %bb.131:
	global_store_dwordx2 v[4:5], v[0:1], off
	s_mov_b64 s[6:7], 0
.LBB8_132:
	s_andn2_b64 vcc, exec, s[6:7]
	s_cbranch_vccnz .LBB8_134
; %bb.133:
	v_cvt_f32_f64_e32 v2, v[0:1]
	global_store_dword v[4:5], v2, off
.LBB8_134:
	s_mov_b64 s[6:7], 0
.LBB8_135:
	s_andn2_b64 vcc, exec, s[6:7]
	s_cbranch_vccnz .LBB8_137
; %bb.136:
	v_cvt_f32_f64_e32 v2, v[0:1]
	v_cvt_f16_f32_e32 v2, v2
	global_store_short v[4:5], v2, off
.LBB8_137:
	s_mov_b64 s[6:7], 0
.LBB8_138:
	s_andn2_b64 vcc, exec, s[6:7]
	s_cbranch_vccnz .LBB8_154
; %bb.139:
	v_mov_b32_e32 v2, 2
	v_cmp_lt_i16_sdwa s[8:9], v41, v2 src0_sel:BYTE_0 src1_sel:DWORD
	s_mov_b64 s[6:7], -1
	s_and_b64 vcc, exec, s[8:9]
	s_cbranch_vccnz .LBB8_149
; %bb.140:
	v_mov_b32_e32 v2, 3
	v_cmp_lt_i16_sdwa s[8:9], v41, v2 src0_sel:BYTE_0 src1_sel:DWORD
	s_and_b64 vcc, exec, s[8:9]
	s_cbranch_vccnz .LBB8_146
; %bb.141:
	v_cmp_gt_i16_sdwa s[8:9], v41, v2 src0_sel:BYTE_0 src1_sel:DWORD
	s_and_b64 vcc, exec, s[8:9]
	s_cbranch_vccz .LBB8_143
; %bb.142:
	v_trunc_f64_e32 v[2:3], v[0:1]
	s_movk_i32 s6, 0xffe0
	v_ldexp_f64 v[6:7], v[2:3], s6
	v_floor_f64_e32 v[6:7], v[6:7]
	v_fmac_f64_e32 v[2:3], 0xc1f00000, v[6:7]
	v_cvt_i32_f64_e32 v9, v[6:7]
	v_cvt_u32_f64_e32 v8, v[2:3]
	global_store_dwordx2 v[4:5], v[8:9], off
	s_mov_b64 s[6:7], 0
.LBB8_143:
	s_andn2_b64 vcc, exec, s[6:7]
	s_cbranch_vccnz .LBB8_145
; %bb.144:
	v_cvt_i32_f64_e32 v2, v[0:1]
	global_store_dword v[4:5], v2, off
.LBB8_145:
	s_mov_b64 s[6:7], 0
.LBB8_146:
	s_andn2_b64 vcc, exec, s[6:7]
	s_cbranch_vccnz .LBB8_148
; %bb.147:
	v_cvt_i32_f64_e32 v2, v[0:1]
	global_store_short v[4:5], v2, off
.LBB8_148:
	s_mov_b64 s[6:7], 0
.LBB8_149:
	s_andn2_b64 vcc, exec, s[6:7]
	s_cbranch_vccnz .LBB8_154
; %bb.150:
	v_mov_b32_e32 v2, 0
	v_cmp_gt_i16_sdwa s[8:9], v41, v2 src0_sel:BYTE_0 src1_sel:DWORD
	s_mov_b64 s[6:7], -1
	s_and_b64 vcc, exec, s[8:9]
	s_cbranch_vccz .LBB8_152
; %bb.151:
	v_cvt_i32_f64_e32 v2, v[0:1]
	global_store_byte v[4:5], v2, off
	s_mov_b64 s[6:7], 0
.LBB8_152:
	s_andn2_b64 vcc, exec, s[6:7]
	s_cbranch_vccnz .LBB8_154
; %bb.153:
	v_trunc_f64_e32 v[0:1], v[0:1]
	s_movk_i32 s6, 0xffe0
	v_ldexp_f64 v[2:3], v[0:1], s6
	v_floor_f64_e32 v[2:3], v[2:3]
	v_fmac_f64_e32 v[0:1], 0xc1f00000, v[2:3]
	v_cvt_u32_f64_e32 v0, v[0:1]
	global_store_byte v[4:5], v0, off
.LBB8_154:
.LBB8_155:
	v_add_u32_e32 v45, 0x80, v45
	s_mov_b64 s[6:7], -1
	s_branch .LBB8_266
.LBB8_156:
	s_mov_b64 s[68:69], -1
                                        ; implicit-def: $vgpr0_vgpr1
.LBB8_157:
	s_mov_b64 s[6:7], 0
.LBB8_158:
	s_and_b64 vcc, exec, s[6:7]
	s_cbranch_vccz .LBB8_162
; %bb.159:
	v_cmp_eq_u16_e32 vcc, 29, v44
	s_cbranch_vccz .LBB8_161
; %bb.160:
	global_load_dwordx2 v[0:1], v[2:3], off
	s_mov_b64 s[4:5], -1
	s_mov_b64 s[68:69], 0
	s_mov_b64 s[6:7], 0
	s_waitcnt vmcnt(0)
	v_cvt_f64_u32_e32 v[4:5], v1
	v_cvt_f64_u32_e32 v[0:1], v0
	v_ldexp_f64 v[4:5], v[4:5], 32
	v_add_f64 v[0:1], v[4:5], v[0:1]
	s_branch .LBB8_163
.LBB8_161:
	s_mov_b64 s[68:69], -1
                                        ; implicit-def: $vgpr0_vgpr1
.LBB8_162:
	s_mov_b64 s[6:7], 0
.LBB8_163:
	s_and_b64 vcc, exec, s[6:7]
	s_cbranch_vccz .LBB8_181
; %bb.164:
	v_cmp_gt_i16_e32 vcc, 27, v44
	s_cbranch_vccnz .LBB8_167
; %bb.165:
	v_cmp_lt_i16_e32 vcc, 27, v44
	s_cbranch_vccz .LBB8_168
; %bb.166:
	global_load_dword v0, v[2:3], off
	s_mov_b64 s[4:5], 0
	s_waitcnt vmcnt(0)
	v_cvt_f64_u32_e32 v[0:1], v0
	s_branch .LBB8_169
.LBB8_167:
	s_mov_b64 s[4:5], -1
                                        ; implicit-def: $vgpr0_vgpr1
	s_branch .LBB8_172
.LBB8_168:
	s_mov_b64 s[4:5], -1
                                        ; implicit-def: $vgpr0_vgpr1
.LBB8_169:
	s_andn2_b64 vcc, exec, s[4:5]
	s_cbranch_vccnz .LBB8_171
; %bb.170:
	global_load_ushort v0, v[2:3], off
	s_waitcnt vmcnt(0)
	v_cvt_f64_u32_e32 v[0:1], v0
.LBB8_171:
	s_mov_b64 s[4:5], 0
.LBB8_172:
	s_andn2_b64 vcc, exec, s[4:5]
	s_cbranch_vccnz .LBB8_180
; %bb.173:
	global_load_ubyte v4, v[2:3], off
	s_movk_i32 s4, 0x7f
                                        ; implicit-def: $sgpr6_sgpr7
	s_waitcnt vmcnt(0)
	v_cmp_lt_i16_e32 vcc, s4, v4
	s_mov_b64 s[4:5], 0
	s_and_saveexec_b64 s[8:9], vcc
	s_xor_b64 s[8:9], exec, s[8:9]
	s_cbranch_execz .LBB8_193
; %bb.174:
	s_movk_i32 s4, 0x80
	v_cmp_eq_u16_e32 vcc, s4, v4
	s_mov_b64 s[10:11], -1
                                        ; implicit-def: $sgpr6_sgpr7
	s_and_saveexec_b64 s[4:5], vcc
; %bb.175:
	s_mov_b32 s7, 0x7ff80000
	s_brev_b32 s6, 4
	s_xor_b64 s[10:11], exec, -1
; %bb.176:
	s_or_b64 exec, exec, s[4:5]
	s_and_b64 s[4:5], s[10:11], exec
	s_or_saveexec_b64 s[8:9], s[8:9]
	v_pk_mov_b32 v[0:1], s[6:7], s[6:7] op_sel:[0,1]
	s_xor_b64 exec, exec, s[8:9]
	s_cbranch_execnz .LBB8_194
.LBB8_177:
	s_or_b64 exec, exec, s[8:9]
	s_and_saveexec_b64 s[6:7], s[4:5]
	s_cbranch_execz .LBB8_179
.LBB8_178:
	v_and_b32_e32 v1, 0xffff, v4
	v_lshlrev_b32_e32 v0, 24, v4
	v_and_b32_e32 v4, 7, v1
	v_ffbh_u32_e32 v6, v4
	v_min_u32_e32 v6, 32, v6
	v_subrev_u32_e32 v7, 28, v6
	v_bfe_u32 v5, v1, 3, 4
	v_lshlrev_b32_e32 v1, v7, v1
	v_sub_u32_e32 v6, 29, v6
	v_and_b32_e32 v1, 7, v1
	v_cmp_eq_u32_e32 vcc, 0, v5
	v_cndmask_b32_e32 v5, v5, v6, vcc
	v_cndmask_b32_e32 v1, v4, v1, vcc
	v_mov_b32_e32 v4, 0x3b800000
	v_lshlrev_b32_e32 v1, 20, v1
	v_and_b32_e32 v0, 0x80000000, v0
	v_lshl_add_u32 v4, v5, 23, v4
	v_or3_b32 v0, v0, v4, v1
	v_cvt_f64_f32_e32 v[0:1], v0
.LBB8_179:
	s_or_b64 exec, exec, s[6:7]
.LBB8_180:
	s_mov_b64 s[4:5], -1
.LBB8_181:
	s_branch .LBB8_216
.LBB8_182:
	v_cmp_lt_i16_e32 vcc, 22, v44
	s_cbranch_vccz .LBB8_192
; %bb.183:
	v_cmp_gt_i16_e32 vcc, 24, v44
	s_cbranch_vccnz .LBB8_195
; %bb.184:
	v_cmp_lt_i16_e32 vcc, 24, v44
	s_cbranch_vccz .LBB8_196
; %bb.185:
	global_load_ubyte v4, v[2:3], off
	s_movk_i32 s4, 0x7f
                                        ; implicit-def: $sgpr6_sgpr7
	s_waitcnt vmcnt(0)
	v_cmp_lt_i16_e32 vcc, s4, v4
	s_mov_b64 s[4:5], 0
	s_and_saveexec_b64 s[8:9], vcc
	s_xor_b64 s[8:9], exec, s[8:9]
	s_cbranch_execz .LBB8_208
; %bb.186:
	s_movk_i32 s4, 0x80
	v_cmp_eq_u16_e32 vcc, s4, v4
	s_mov_b64 s[10:11], -1
                                        ; implicit-def: $sgpr6_sgpr7
	s_and_saveexec_b64 s[4:5], vcc
; %bb.187:
	s_mov_b32 s7, 0x7ff80000
	s_brev_b32 s6, 4
	s_xor_b64 s[10:11], exec, -1
; %bb.188:
	s_or_b64 exec, exec, s[4:5]
	s_and_b64 s[4:5], s[10:11], exec
	s_or_saveexec_b64 s[8:9], s[8:9]
	v_pk_mov_b32 v[0:1], s[6:7], s[6:7] op_sel:[0,1]
	s_xor_b64 exec, exec, s[8:9]
	s_cbranch_execnz .LBB8_209
.LBB8_189:
	s_or_b64 exec, exec, s[8:9]
	s_and_saveexec_b64 s[6:7], s[4:5]
	s_cbranch_execz .LBB8_191
.LBB8_190:
	v_and_b32_e32 v1, 0xffff, v4
	v_lshlrev_b32_e32 v0, 24, v4
	v_and_b32_e32 v4, 3, v1
	v_ffbh_u32_e32 v6, v4
	v_min_u32_e32 v6, 32, v6
	v_subrev_u32_e32 v7, 29, v6
	v_bfe_u32 v5, v1, 2, 5
	v_lshlrev_b32_e32 v1, v7, v1
	v_sub_u32_e32 v6, 30, v6
	v_and_b32_e32 v1, 3, v1
	v_cmp_eq_u32_e32 vcc, 0, v5
	v_cndmask_b32_e32 v5, v5, v6, vcc
	v_cndmask_b32_e32 v1, v4, v1, vcc
	v_mov_b32_e32 v4, 0x37800000
	v_lshlrev_b32_e32 v1, 21, v1
	v_and_b32_e32 v0, 0x80000000, v0
	v_lshl_add_u32 v4, v5, 23, v4
	v_or3_b32 v0, v0, v4, v1
	v_cvt_f64_f32_e32 v[0:1], v0
.LBB8_191:
	s_or_b64 exec, exec, s[6:7]
	s_mov_b64 s[4:5], 0
	s_branch .LBB8_197
.LBB8_192:
	s_mov_b64 s[6:7], -1
                                        ; implicit-def: $vgpr0_vgpr1
	s_branch .LBB8_203
.LBB8_193:
	s_or_saveexec_b64 s[8:9], s[8:9]
	v_pk_mov_b32 v[0:1], s[6:7], s[6:7] op_sel:[0,1]
	s_xor_b64 exec, exec, s[8:9]
	s_cbranch_execz .LBB8_177
.LBB8_194:
	v_cmp_ne_u16_e32 vcc, 0, v4
	s_andn2_b64 s[4:5], s[4:5], exec
	s_and_b64 s[6:7], vcc, exec
	v_pk_mov_b32 v[0:1], 0, 0
	s_or_b64 s[4:5], s[4:5], s[6:7]
	s_or_b64 exec, exec, s[8:9]
	s_and_saveexec_b64 s[6:7], s[4:5]
	s_cbranch_execnz .LBB8_178
	s_branch .LBB8_179
.LBB8_195:
	s_mov_b64 s[4:5], -1
                                        ; implicit-def: $vgpr0_vgpr1
	s_branch .LBB8_200
.LBB8_196:
	s_mov_b64 s[4:5], -1
                                        ; implicit-def: $vgpr0_vgpr1
.LBB8_197:
	s_and_b64 vcc, exec, s[4:5]
	s_cbranch_vccz .LBB8_199
; %bb.198:
	global_load_ubyte v0, v[2:3], off
	s_mov_b32 s4, 0x7f800000
	s_waitcnt vmcnt(0)
	v_lshlrev_b32_e32 v0, 24, v0
	v_and_b32_e32 v1, 0x7f000000, v0
	v_ffbh_u32_e32 v4, v1
	v_min_u32_e32 v4, 32, v4
	v_sub_u32_e64 v4, v4, 4 clamp
	v_lshlrev_b32_e32 v6, v4, v1
	v_lshlrev_b32_e32 v4, 23, v4
	v_lshrrev_b32_e32 v6, 4, v6
	v_add_u32_e32 v5, 0x1000000, v1
	v_sub_u32_e32 v4, v6, v4
	v_ashrrev_i32_e32 v5, 8, v5
	v_add_u32_e32 v4, 0x3c000000, v4
	v_and_or_b32 v4, v5, s4, v4
	v_cmp_ne_u32_e32 vcc, 0, v1
	v_cndmask_b32_e32 v1, 0, v4, vcc
	s_brev_b32 s4, 1
	v_and_or_b32 v0, v0, s4, v1
	v_cvt_f64_f32_e32 v[0:1], v0
.LBB8_199:
	s_mov_b64 s[4:5], 0
.LBB8_200:
	s_andn2_b64 vcc, exec, s[4:5]
	s_cbranch_vccnz .LBB8_202
; %bb.201:
	global_load_ubyte v0, v[2:3], off
	s_movk_i32 s4, 0x7f00
	s_brev_b32 s5, 16
	s_waitcnt vmcnt(0)
	v_lshlrev_b16_e32 v1, 8, v0
	v_lshlrev_b32_e32 v0, 25, v0
	v_lshrrev_b32_e32 v4, 4, v0
	v_and_or_b32 v5, v1, s4, 0.5
	v_or_b32_e32 v4, 0x70000000, v4
	v_add_f32_e32 v5, -0.5, v5
	v_mul_f32_e32 v4, 0x7800000, v4
	v_cmp_gt_u32_e32 vcc, s5, v0
	v_bfe_i32 v1, v1, 0, 16
	v_cndmask_b32_e32 v0, v4, v5, vcc
	s_brev_b32 s4, 1
	v_and_or_b32 v0, v1, s4, v0
	v_cvt_f64_f32_e32 v[0:1], v0
.LBB8_202:
	s_mov_b64 s[6:7], 0
	s_mov_b64 s[4:5], -1
.LBB8_203:
	s_andn2_b64 vcc, exec, s[6:7]
	s_cbranch_vccnz .LBB8_216
; %bb.204:
	v_cmp_lt_i16_e32 vcc, 14, v44
	s_cbranch_vccz .LBB8_207
; %bb.205:
	v_cmp_eq_u16_e32 vcc, 15, v44
	s_cbranch_vccz .LBB8_210
; %bb.206:
	global_load_ushort v0, v[2:3], off
	s_mov_b64 s[4:5], -1
	s_mov_b64 s[68:69], 0
	s_waitcnt vmcnt(0)
	v_lshlrev_b32_e32 v0, 16, v0
	v_cvt_f64_f32_e32 v[0:1], v0
	s_branch .LBB8_211
.LBB8_207:
	s_mov_b64 s[6:7], -1
                                        ; implicit-def: $vgpr0_vgpr1
	s_branch .LBB8_212
.LBB8_208:
	s_or_saveexec_b64 s[8:9], s[8:9]
	v_pk_mov_b32 v[0:1], s[6:7], s[6:7] op_sel:[0,1]
	s_xor_b64 exec, exec, s[8:9]
	s_cbranch_execz .LBB8_189
.LBB8_209:
	v_cmp_ne_u16_e32 vcc, 0, v4
	s_andn2_b64 s[4:5], s[4:5], exec
	s_and_b64 s[6:7], vcc, exec
	v_pk_mov_b32 v[0:1], 0, 0
	s_or_b64 s[4:5], s[4:5], s[6:7]
	s_or_b64 exec, exec, s[8:9]
	s_and_saveexec_b64 s[6:7], s[4:5]
	s_cbranch_execnz .LBB8_190
	s_branch .LBB8_191
.LBB8_210:
	s_mov_b64 s[68:69], -1
                                        ; implicit-def: $vgpr0_vgpr1
.LBB8_211:
	s_mov_b64 s[6:7], 0
.LBB8_212:
	s_and_b64 vcc, exec, s[6:7]
	s_cbranch_vccz .LBB8_216
; %bb.213:
	v_cmp_eq_u16_e32 vcc, 11, v44
	s_cbranch_vccz .LBB8_215
; %bb.214:
	global_load_ubyte v1, v[2:3], off
	v_mov_b32_e32 v4, 0x3ff00000
	v_mov_b32_e32 v0, 0
	s_mov_b64 s[4:5], -1
	s_mov_b64 s[68:69], 0
	s_waitcnt vmcnt(0)
	v_cmp_ne_u16_e32 vcc, 0, v1
	v_cndmask_b32_e32 v1, 0, v4, vcc
	s_branch .LBB8_216
.LBB8_215:
	s_mov_b64 s[68:69], -1
                                        ; implicit-def: $vgpr0_vgpr1
.LBB8_216:
	s_branch .LBB8_25
.LBB8_217:
	v_cmp_gt_i16_e32 vcc, 5, v44
	s_cbranch_vccnz .LBB8_222
; %bb.218:
	v_cmp_gt_i16_e32 vcc, 8, v44
	s_cbranch_vccnz .LBB8_223
; %bb.219:
	;; [unrolled: 3-line block ×3, first 2 shown]
	v_cmp_lt_i16_e32 vcc, 9, v44
	s_cbranch_vccz .LBB8_225
; %bb.221:
	global_load_dwordx2 v[0:1], v[2:3], off
	s_mov_b64 s[4:5], 0
	s_branch .LBB8_226
.LBB8_222:
                                        ; implicit-def: $vgpr0_vgpr1
	s_branch .LBB8_244
.LBB8_223:
	s_mov_b64 s[4:5], -1
                                        ; implicit-def: $vgpr0_vgpr1
	s_branch .LBB8_232
.LBB8_224:
	s_mov_b64 s[4:5], -1
                                        ; implicit-def: $vgpr0_vgpr1
	s_branch .LBB8_229
.LBB8_225:
	s_mov_b64 s[4:5], -1
                                        ; implicit-def: $vgpr0_vgpr1
.LBB8_226:
	s_andn2_b64 vcc, exec, s[4:5]
	s_cbranch_vccnz .LBB8_228
; %bb.227:
	global_load_dword v0, v[2:3], off
	s_waitcnt vmcnt(0)
	v_cvt_f64_f32_e32 v[0:1], v0
.LBB8_228:
	s_mov_b64 s[4:5], 0
.LBB8_229:
	s_andn2_b64 vcc, exec, s[4:5]
	s_cbranch_vccnz .LBB8_231
; %bb.230:
	global_load_dword v0, v[2:3], off
	s_waitcnt vmcnt(0)
	v_cvt_f32_f16_e32 v0, v0
	v_cvt_f64_f32_e32 v[0:1], v0
.LBB8_231:
	s_mov_b64 s[4:5], 0
.LBB8_232:
	s_andn2_b64 vcc, exec, s[4:5]
	s_cbranch_vccnz .LBB8_243
; %bb.233:
	v_cmp_gt_i16_e32 vcc, 6, v44
	s_cbranch_vccnz .LBB8_236
; %bb.234:
	v_cmp_lt_i16_e32 vcc, 6, v44
	s_cbranch_vccz .LBB8_237
; %bb.235:
	global_load_dwordx2 v[0:1], v[2:3], off
	s_mov_b64 s[4:5], 0
	s_branch .LBB8_238
.LBB8_236:
	s_mov_b64 s[4:5], -1
                                        ; implicit-def: $vgpr0_vgpr1
	s_branch .LBB8_241
.LBB8_237:
	s_mov_b64 s[4:5], -1
                                        ; implicit-def: $vgpr0_vgpr1
.LBB8_238:
	s_andn2_b64 vcc, exec, s[4:5]
	s_cbranch_vccnz .LBB8_240
; %bb.239:
	global_load_dword v0, v[2:3], off
	s_waitcnt vmcnt(0)
	v_cvt_f64_f32_e32 v[0:1], v0
.LBB8_240:
	s_mov_b64 s[4:5], 0
.LBB8_241:
	s_andn2_b64 vcc, exec, s[4:5]
	s_cbranch_vccnz .LBB8_243
; %bb.242:
	global_load_ushort v0, v[2:3], off
	s_waitcnt vmcnt(0)
	v_cvt_f32_f16_e32 v0, v0
	v_cvt_f64_f32_e32 v[0:1], v0
.LBB8_243:
	s_cbranch_execnz .LBB8_263
.LBB8_244:
	v_cmp_gt_i16_e32 vcc, 2, v44
	s_cbranch_vccnz .LBB8_248
; %bb.245:
	v_cmp_gt_i16_e32 vcc, 3, v44
	s_cbranch_vccnz .LBB8_249
; %bb.246:
	v_cmp_lt_i16_e32 vcc, 3, v44
	s_cbranch_vccz .LBB8_250
; %bb.247:
	global_load_dwordx2 v[0:1], v[2:3], off
	s_mov_b64 s[4:5], 0
	s_waitcnt vmcnt(0)
	v_cvt_f64_i32_e32 v[4:5], v1
	v_cvt_f64_u32_e32 v[0:1], v0
	v_ldexp_f64 v[4:5], v[4:5], 32
	v_add_f64 v[0:1], v[4:5], v[0:1]
	s_branch .LBB8_251
.LBB8_248:
	s_mov_b64 s[4:5], -1
                                        ; implicit-def: $vgpr0_vgpr1
	s_branch .LBB8_257
.LBB8_249:
	s_mov_b64 s[4:5], -1
                                        ; implicit-def: $vgpr0_vgpr1
	s_branch .LBB8_254
.LBB8_250:
	s_mov_b64 s[4:5], -1
                                        ; implicit-def: $vgpr0_vgpr1
.LBB8_251:
	s_andn2_b64 vcc, exec, s[4:5]
	s_cbranch_vccnz .LBB8_253
; %bb.252:
	global_load_dword v0, v[2:3], off
	s_waitcnt vmcnt(0)
	v_cvt_f64_i32_e32 v[0:1], v0
.LBB8_253:
	s_mov_b64 s[4:5], 0
.LBB8_254:
	s_andn2_b64 vcc, exec, s[4:5]
	s_cbranch_vccnz .LBB8_256
; %bb.255:
	global_load_sshort v0, v[2:3], off
	s_waitcnt vmcnt(0)
	v_cvt_f64_i32_e32 v[0:1], v0
.LBB8_256:
	s_mov_b64 s[4:5], 0
.LBB8_257:
	s_andn2_b64 vcc, exec, s[4:5]
	s_cbranch_vccnz .LBB8_263
; %bb.258:
	v_cmp_lt_i16_e32 vcc, 0, v44
	s_cbranch_vccz .LBB8_260
; %bb.259:
	global_load_sbyte v0, v[2:3], off
	s_mov_b64 s[4:5], 0
	s_waitcnt vmcnt(0)
	v_cvt_f64_i32_e32 v[0:1], v0
	s_branch .LBB8_261
.LBB8_260:
	s_mov_b64 s[4:5], -1
                                        ; implicit-def: $vgpr0_vgpr1
.LBB8_261:
	s_andn2_b64 vcc, exec, s[4:5]
	s_cbranch_vccnz .LBB8_263
; %bb.262:
	global_load_ubyte v0, v[2:3], off
	s_waitcnt vmcnt(0)
	v_cvt_f64_u32_e32 v[0:1], v0
.LBB8_263:
	s_branch .LBB8_26
.LBB8_264:
	s_mov_b64 s[4:5], 0
.LBB8_265:
	s_mov_b64 s[6:7], 0
                                        ; implicit-def: $vgpr45
.LBB8_266:
	s_and_b64 s[66:67], s[4:5], exec
	s_and_b64 s[68:69], s[68:69], exec
	s_orn2_b64 s[6:7], s[6:7], exec
.LBB8_267:
	s_or_b64 exec, exec, s[70:71]
	s_mov_b64 s[8:9], 0
	s_mov_b64 s[4:5], 0
                                        ; implicit-def: $vgpr0_vgpr1
                                        ; implicit-def: $vgpr42
                                        ; implicit-def: $vgpr2_vgpr3
	s_and_saveexec_b64 s[70:71], s[6:7]
	s_cbranch_execz .LBB8_275
; %bb.268:
	v_cmp_gt_i32_e32 vcc, s84, v45
	s_mov_b64 s[4:5], -1
	s_mov_b64 s[72:73], s[68:69]
	s_mov_b64 s[74:75], s[66:67]
	s_and_saveexec_b64 s[76:77], vcc
	s_cbranch_execz .LBB8_544
; %bb.269:
	s_andn2_b64 vcc, exec, s[54:55]
	s_cbranch_vccnz .LBB8_278
; %bb.270:
	s_mov_b32 s24, 0
	s_andn2_b64 vcc, exec, s[64:65]
	s_waitcnt vmcnt(0)
	v_mov_b32_e32 v0, 0
	v_mov_b32_e32 v42, 0
	s_cbranch_vccnz .LBB8_284
; %bb.271:
	s_add_i32 s30, s85, 1
	s_cmp_eq_u32 s83, 2
	s_cbranch_scc1 .LBB8_279
; %bb.272:
	s_and_b32 s24, s30, 28
	s_mov_b32 s25, 0
	v_mov_b32_e32 v42, 0
	s_mov_b64 s[26:27], s[38:39]
	s_mov_b64 s[28:29], s[62:63]
	v_mov_b32_e32 v1, v45
	v_mov_b32_e32 v0, 0
.LBB8_273:                              ; =>This Inner Loop Header: Depth=1
	s_load_dwordx8 s[12:19], s[26:27], 0x4
	s_load_dwordx4 s[20:23], s[26:27], 0x24
	s_load_dwordx8 s[4:11], s[28:29], 0x0
	s_add_u32 s26, s26, 48
	s_addc_u32 s27, s27, 0
	s_waitcnt lgkmcnt(0)
	v_mul_hi_u32 v2, s13, v1
	v_add_u32_e32 v2, v1, v2
	v_lshrrev_b32_e32 v2, s14, v2
	v_mul_lo_u32 v3, v2, s12
	v_mul_hi_u32 v4, s16, v2
	v_sub_u32_e32 v1, v1, v3
	v_add_u32_e32 v3, v2, v4
	v_lshrrev_b32_e32 v3, s17, v3
	v_mul_lo_u32 v5, v3, s15
	v_mul_hi_u32 v6, s19, v3
	v_sub_u32_e32 v2, v2, v5
	v_add_u32_e32 v5, v3, v6
	v_mul_lo_u32 v4, v1, s5
	v_mul_lo_u32 v1, v1, s4
	;; [unrolled: 1-line block ×4, first 2 shown]
	v_lshrrev_b32_e32 v5, s20, v5
	v_add3_u32 v2, v1, v42, v2
	v_add3_u32 v0, v4, v0, v6
	v_mul_lo_u32 v1, v5, s18
	v_mul_hi_u32 v4, s22, v5
	v_sub_u32_e32 v1, v3, v1
	v_add_u32_e32 v3, v5, v4
	v_mul_lo_u32 v4, v1, s8
	v_mul_lo_u32 v6, v1, s9
	v_lshrrev_b32_e32 v1, s23, v3
	s_add_i32 s25, s25, 4
	v_mul_lo_u32 v3, v1, s21
	s_add_u32 s28, s28, 32
	v_sub_u32_e32 v3, v5, v3
	s_addc_u32 s29, s29, 0
	v_mul_lo_u32 v5, v3, s10
	v_mul_lo_u32 v3, v3, s11
	s_cmp_eq_u32 s24, s25
	v_add3_u32 v0, v6, v0, v3
	v_add3_u32 v42, v4, v2, v5
	s_cbranch_scc0 .LBB8_273
; %bb.274:
	v_mov_b32_e32 v43, v0
	s_branch .LBB8_280
.LBB8_275:
	s_or_b64 exec, exec, s[70:71]
	s_waitcnt lgkmcnt(0)
	s_mov_b64 s[42:43], 0
	s_and_saveexec_b64 s[6:7], s[68:69]
	s_cbranch_execnz .LBB8_922
.LBB8_276:
	s_or_b64 exec, exec, s[6:7]
	s_and_saveexec_b64 s[6:7], s[74:75]
	s_xor_b64 s[6:7], exec, s[6:7]
	s_cbranch_execz .LBB8_923
.LBB8_277:
	s_waitcnt vmcnt(0)
	global_load_ubyte v3, v[0:1], off
	v_mov_b32_e32 v4, 0x3ff00000
	v_mov_b32_e32 v2, 0
	s_or_b64 s[4:5], s[4:5], exec
	s_waitcnt vmcnt(0)
	v_cmp_ne_u16_e32 vcc, 0, v3
	v_cndmask_b32_e32 v3, 0, v4, vcc
	s_or_b64 exec, exec, s[6:7]
	s_and_saveexec_b64 s[6:7], s[8:9]
	s_cbranch_execz .LBB8_969
	s_branch .LBB8_924
.LBB8_278:
                                        ; implicit-def: $vgpr0
                                        ; implicit-def: $vgpr42
	s_andn2_b64 vcc, exec, s[4:5]
	s_cbranch_vccz .LBB8_285
	s_branch .LBB8_287
.LBB8_279:
	s_mov_b32 s25, s24
	v_pk_mov_b32 v[42:43], s[24:25], s[24:25] op_sel:[0,1]
                                        ; implicit-def: $vgpr0
	v_mov_b32_e32 v1, v45
.LBB8_280:
	s_and_b32 s8, s30, 3
	s_cmp_eq_u32 s8, 0
	s_cbranch_scc1 .LBB8_284
; %bb.281:
	s_lshl_b32 s4, s24, 3
	s_add_u32 s4, s4, s38
	s_addc_u32 s5, s39, 0
	s_add_u32 s4, s4, 0xc4
	s_addc_u32 s5, s5, 0
	s_mul_i32 s6, s24, 12
	s_add_u32 s6, s38, s6
	s_addc_u32 s7, s39, 0
.LBB8_282:                              ; =>This Inner Loop Header: Depth=1
	s_load_dwordx2 s[10:11], s[6:7], 0x4
	s_load_dword s9, s[6:7], 0xc
	s_load_dwordx2 s[12:13], s[4:5], 0x0
	s_add_u32 s6, s6, 12
	s_addc_u32 s7, s7, 0
	s_waitcnt lgkmcnt(0)
	v_mul_hi_u32 v2, s11, v1
	v_add_u32_e32 v2, v1, v2
	v_lshrrev_b32_e32 v2, s9, v2
	v_mul_lo_u32 v3, v2, s10
	v_mov_b32_e32 v0, v43
	s_add_u32 s4, s4, 8
	v_sub_u32_e32 v4, v1, v3
	v_mov_b32_e32 v1, v2
	s_addc_u32 s5, s5, 0
	s_add_i32 s8, s8, -1
	v_mad_u64_u32 v[2:3], s[10:11], v4, s13, v[0:1]
	v_mad_u64_u32 v[42:43], s[10:11], v4, s12, v[42:43]
	s_cmp_lg_u32 s8, 0
	v_mov_b32_e32 v43, v2
	s_cbranch_scc1 .LBB8_282
; %bb.283:
	v_mov_b32_e32 v0, v43
.LBB8_284:
	s_cbranch_execnz .LBB8_287
.LBB8_285:
	s_waitcnt vmcnt(0) lgkmcnt(0)
	v_mul_hi_u32 v0, s49, v45
	v_add_u32_e32 v0, v45, v0
	v_lshrrev_b32_e32 v1, s50, v0
	v_mul_lo_u32 v0, v1, s48
	v_sub_u32_e32 v2, v45, v0
	v_mul_lo_u32 v0, v2, s45
	s_andn2_b64 vcc, exec, s[60:61]
	v_mul_lo_u32 v42, v2, s44
	s_cbranch_vccnz .LBB8_287
; %bb.286:
	v_mul_hi_u32 v2, s58, v1
	v_add_u32_e32 v2, v1, v2
	v_lshrrev_b32_e32 v2, s59, v2
	v_mul_lo_u32 v2, v2, s51
	v_sub_u32_e32 v1, v1, v2
	v_mad_u64_u32 v[42:43], s[4:5], v1, s46, v[42:43]
	v_mad_u64_u32 v[0:1], s[4:5], v1, s47, v[0:1]
.LBB8_287:
	s_waitcnt vmcnt(0) lgkmcnt(0)
	v_mov_b32_e32 v1, s43
	v_add_co_u32_e32 v2, vcc, s42, v0
	v_addc_co_u32_e32 v3, vcc, 0, v1, vcc
	v_cmp_gt_i16_e32 vcc, 11, v44
	s_cbranch_vccnz .LBB8_294
; %bb.288:
	v_cmp_lt_i16_e32 vcc, 25, v44
	s_cbranch_vccz .LBB8_303
; %bb.289:
	v_cmp_lt_i16_e32 vcc, 28, v44
	s_cbranch_vccz .LBB8_305
	;; [unrolled: 3-line block ×4, first 2 shown]
; %bb.292:
	v_cmp_eq_u16_e32 vcc, 46, v44
	s_mov_b64 s[6:7], 0
	s_cbranch_vccz .LBB8_315
; %bb.293:
	global_load_dword v0, v[2:3], off
	s_mov_b64 s[4:5], -1
	s_mov_b64 s[72:73], 0
	s_waitcnt vmcnt(0)
	v_lshlrev_b32_e32 v0, 16, v0
	v_cvt_f64_f32_e32 v[0:1], v0
	s_branch .LBB8_316
.LBB8_294:
	s_mov_b64 s[4:5], 0
                                        ; implicit-def: $vgpr0_vgpr1
	s_mov_b64 s[72:73], s[68:69]
	s_cbranch_execnz .LBB8_493
.LBB8_295:
	s_andn2_b64 vcc, exec, s[4:5]
	s_cbranch_vccnz .LBB8_541
.LBB8_296:
	s_getpc_b64 s[4:5]
	s_add_u32 s4, s4, _Z17bessel_j1_forwardIdET_S0_@rel32@lo+4
	s_addc_u32 s5, s5, _Z17bessel_j1_forwardIdET_S0_@rel32@hi+12
	s_swappc_b64 s[30:31], s[4:5]
	v_mov_b32_e32 v2, s41
	v_add_co_u32_e32 v4, vcc, s40, v42
	v_addc_co_u32_e32 v5, vcc, 0, v2, vcc
	v_mov_b32_e32 v2, 11
	v_cmp_lt_i16_sdwa s[4:5], v41, v2 src0_sel:BYTE_0 src1_sel:DWORD
	s_and_b64 vcc, exec, s[4:5]
	s_cbranch_vccnz .LBB8_304
; %bb.297:
	v_mov_b32_e32 v2, 25
	v_cmp_gt_i16_sdwa s[4:5], v41, v2 src0_sel:BYTE_0 src1_sel:DWORD
	s_and_b64 vcc, exec, s[4:5]
	s_cbranch_vccz .LBB8_306
; %bb.298:
	v_mov_b32_e32 v2, 28
	v_cmp_gt_i16_sdwa s[4:5], v41, v2 src0_sel:BYTE_0 src1_sel:DWORD
	s_and_b64 vcc, exec, s[4:5]
	s_cbranch_vccz .LBB8_308
	;; [unrolled: 5-line block ×4, first 2 shown]
; %bb.301:
	v_mov_b32_e32 v2, 46
	v_cmp_eq_u16_sdwa s[6:7], v41, v2 src0_sel:BYTE_0 src1_sel:DWORD
	s_mov_b64 s[8:9], 0
	s_mov_b64 s[4:5], -1
	s_and_b64 vcc, exec, s[6:7]
	s_mov_b64 s[6:7], 0
	s_cbranch_vccz .LBB8_320
; %bb.302:
	v_cvt_f32_f64_e32 v2, v[0:1]
	v_bfe_u32 v3, v2, 16, 1
	s_movk_i32 s4, 0x7fff
	v_add3_u32 v3, v2, v3, s4
	v_lshrrev_b32_e32 v3, 16, v3
	v_mov_b32_e32 v6, 0x7fc0
	v_cmp_o_f32_e32 vcc, v2, v2
	v_cndmask_b32_e32 v2, v6, v3, vcc
	global_store_dword v[4:5], v2, off
	s_mov_b64 s[6:7], -1
	s_mov_b64 s[4:5], 0
	s_branch .LBB8_320
.LBB8_303:
	s_mov_b64 s[6:7], -1
	s_mov_b64 s[4:5], 0
	s_mov_b64 s[72:73], s[68:69]
                                        ; implicit-def: $vgpr0_vgpr1
	s_branch .LBB8_457
.LBB8_304:
	s_mov_b64 s[8:9], -1
	s_mov_b64 s[6:7], 0
	s_mov_b64 s[4:5], s[66:67]
	s_branch .LBB8_389
.LBB8_305:
	s_mov_b64 s[6:7], -1
	s_mov_b64 s[4:5], 0
	s_mov_b64 s[72:73], s[68:69]
                                        ; implicit-def: $vgpr0_vgpr1
	s_branch .LBB8_438
.LBB8_306:
	s_mov_b64 s[8:9], -1
	s_mov_b64 s[6:7], 0
	s_mov_b64 s[4:5], s[66:67]
	s_branch .LBB8_347
.LBB8_307:
	s_mov_b64 s[6:7], -1
	s_mov_b64 s[4:5], 0
	s_mov_b64 s[72:73], s[68:69]
                                        ; implicit-def: $vgpr0_vgpr1
	s_branch .LBB8_433
.LBB8_308:
	s_mov_b64 s[8:9], -1
	s_mov_b64 s[6:7], 0
	s_mov_b64 s[4:5], s[66:67]
	s_branch .LBB8_330
.LBB8_309:
	s_or_saveexec_b64 s[10:11], s[10:11]
                                        ; implicit-def: $sgpr12
	s_xor_b64 exec, exec, s[10:11]
	s_cbranch_execz .LBB8_69
.LBB8_310:
	s_mov_b32 s12, 0x46000000
	v_add_f32_e64 v3, |v2|, s12
	v_and_b32_e32 v3, 0xff, v3
	v_cmp_ne_u32_e32 vcc, 0, v3
	s_andn2_b64 s[8:9], s[8:9], exec
	s_and_b64 s[14:15], vcc, exec
	s_mov_b32 s12, 0
	s_or_b64 s[8:9], s[8:9], s[14:15]
	s_or_b64 exec, exec, s[10:11]
	v_mov_b32_e32 v6, s12
	s_and_saveexec_b64 s[10:11], s[8:9]
	s_cbranch_execnz .LBB8_70
	s_branch .LBB8_71
.LBB8_311:
	s_mov_b64 s[6:7], -1
	s_mov_b64 s[4:5], 0
	s_mov_b64 s[72:73], s[68:69]
                                        ; implicit-def: $vgpr0_vgpr1
	s_branch .LBB8_316
.LBB8_312:
	s_mov_b64 s[8:9], -1
	s_mov_b64 s[6:7], 0
	s_mov_b64 s[4:5], s[66:67]
	s_branch .LBB8_326
.LBB8_313:
	s_or_saveexec_b64 s[10:11], s[10:11]
                                        ; implicit-def: $sgpr12
	s_xor_b64 exec, exec, s[10:11]
	s_cbranch_execz .LBB8_82
.LBB8_314:
	s_mov_b32 s12, 0x42800000
	v_add_f32_e64 v3, |v2|, s12
	v_and_b32_e32 v3, 0xff, v3
	v_cmp_ne_u32_e32 vcc, 0, v3
	s_andn2_b64 s[8:9], s[8:9], exec
	s_and_b64 s[14:15], vcc, exec
	s_mov_b32 s12, 0
	s_or_b64 s[8:9], s[8:9], s[14:15]
	s_or_b64 exec, exec, s[10:11]
	v_mov_b32_e32 v6, s12
	s_and_saveexec_b64 s[10:11], s[8:9]
	s_cbranch_execnz .LBB8_83
	s_branch .LBB8_84
.LBB8_315:
	s_mov_b64 s[72:73], -1
                                        ; implicit-def: $vgpr0_vgpr1
	s_mov_b64 s[4:5], 0
.LBB8_316:
	s_and_b64 vcc, exec, s[6:7]
	s_cbranch_vccz .LBB8_432
; %bb.317:
	v_cmp_eq_u16_e32 vcc, 44, v44
	s_cbranch_vccz .LBB8_431
; %bb.318:
	global_load_ubyte v4, v[2:3], off
	s_movk_i32 s6, 0xff
	v_bfrev_b32_e32 v5, 4
	v_mov_b32_e32 v6, 0x7ff80000
	v_bfrev_b32_e32 v7, 28
	s_mov_b64 s[4:5], -1
	s_mov_b64 s[72:73], 0
	s_waitcnt vmcnt(0)
	v_lshlrev_b32_e32 v0, 23, v4
	v_cvt_f64_f32_e32 v[0:1], v0
	v_cmp_ne_u32_e32 vcc, s6, v4
	v_cndmask_b32_e32 v0, v5, v0, vcc
	v_cndmask_b32_e32 v1, v6, v1, vcc
	v_cmp_ne_u32_e32 vcc, 0, v4
	v_cndmask_b32_e32 v1, v7, v1, vcc
	v_cndmask_b32_e32 v0, 0, v0, vcc
	s_branch .LBB8_432
.LBB8_319:
	s_mov_b64 s[8:9], -1
	s_mov_b64 s[6:7], 0
	s_mov_b64 s[4:5], s[66:67]
.LBB8_320:
	s_and_b64 vcc, exec, s[8:9]
	s_cbranch_vccz .LBB8_325
; %bb.321:
	v_mov_b32_e32 v2, 44
	v_cmp_eq_u16_sdwa s[8:9], v41, v2 src0_sel:BYTE_0 src1_sel:DWORD
	s_mov_b64 s[4:5], -1
	s_and_b64 vcc, exec, s[8:9]
	s_cbranch_vccz .LBB8_325
; %bb.322:
	v_cvt_f32_f64_e32 v2, v[0:1]
	v_bfe_u32 v3, v2, 23, 8
	s_movk_i32 s4, 0xff
	v_cmp_ne_u32_e32 vcc, s4, v3
	v_mov_b32_e32 v6, 0xff
	s_and_saveexec_b64 s[6:7], vcc
; %bb.323:
	s_mov_b32 s4, 0x3fffff
	v_lshrrev_b32_e32 v6, 23, v2
	v_and_b32_e32 v7, 0x400000, v2
	v_and_or_b32 v2, v2, s4, v3
	v_cmp_ne_u32_e32 vcc, 0, v7
	v_cmp_ne_u32_e64 s[4:5], 0, v2
	s_and_b64 s[4:5], vcc, s[4:5]
	v_cndmask_b32_e64 v2, 0, 1, s[4:5]
	v_add_u32_e32 v6, v6, v2
; %bb.324:
	s_or_b64 exec, exec, s[6:7]
	s_mov_b64 s[6:7], -1
	s_mov_b64 s[4:5], 0
	global_store_byte v[4:5], v6, off
.LBB8_325:
	s_mov_b64 s[8:9], 0
.LBB8_326:
	s_and_b64 vcc, exec, s[8:9]
	s_cbranch_vccz .LBB8_329
; %bb.327:
	v_mov_b32_e32 v2, 29
	v_cmp_eq_u16_sdwa s[8:9], v41, v2 src0_sel:BYTE_0 src1_sel:DWORD
	s_mov_b64 s[4:5], -1
	s_and_b64 vcc, exec, s[8:9]
	s_cbranch_vccz .LBB8_329
; %bb.328:
	v_trunc_f64_e32 v[2:3], v[0:1]
	s_movk_i32 s4, 0xffe0
	v_ldexp_f64 v[6:7], v[2:3], s4
	v_floor_f64_e32 v[6:7], v[6:7]
	v_fmac_f64_e32 v[2:3], 0xc1f00000, v[6:7]
	v_cvt_u32_f64_e32 v9, v[6:7]
	v_cvt_u32_f64_e32 v8, v[2:3]
	global_store_dwordx2 v[4:5], v[8:9], off
	s_mov_b64 s[6:7], -1
	s_mov_b64 s[4:5], 0
.LBB8_329:
	s_mov_b64 s[8:9], 0
.LBB8_330:
	s_and_b64 vcc, exec, s[8:9]
	s_cbranch_vccz .LBB8_346
; %bb.331:
	v_mov_b32_e32 v2, 27
	v_cmp_lt_i16_sdwa s[8:9], v41, v2 src0_sel:BYTE_0 src1_sel:DWORD
	s_mov_b64 s[6:7], -1
	s_and_b64 vcc, exec, s[8:9]
	s_cbranch_vccnz .LBB8_337
; %bb.332:
	v_cmp_gt_i16_sdwa s[8:9], v41, v2 src0_sel:BYTE_0 src1_sel:DWORD
	s_and_b64 vcc, exec, s[8:9]
	v_cvt_u32_f64_e32 v2, v[0:1]
	s_cbranch_vccz .LBB8_334
; %bb.333:
	s_mov_b64 s[6:7], 0
	global_store_dword v[4:5], v2, off
.LBB8_334:
	s_andn2_b64 vcc, exec, s[6:7]
	s_cbranch_vccnz .LBB8_336
; %bb.335:
	global_store_short v[4:5], v2, off
.LBB8_336:
	s_mov_b64 s[6:7], 0
.LBB8_337:
	s_andn2_b64 vcc, exec, s[6:7]
	s_cbranch_vccnz .LBB8_345
; %bb.338:
	v_cvt_f32_f64_e32 v2, v[0:1]
	v_and_b32_e32 v3, 0x7fffffff, v2
	s_mov_b32 s6, 0x43800000
	v_cmp_gt_u32_e32 vcc, s6, v3
	v_mov_b32_e32 v6, 0x80
	s_and_saveexec_b64 s[6:7], vcc
	s_cbranch_execz .LBB8_344
; %bb.339:
	s_mov_b32 s8, 0x3bffffff
	v_cmp_lt_u32_e32 vcc, s8, v3
	s_mov_b64 s[8:9], 0
                                        ; implicit-def: $vgpr3
	s_and_saveexec_b64 s[10:11], vcc
	s_xor_b64 s[10:11], exec, s[10:11]
	s_cbranch_execz .LBB8_573
; %bb.340:
	v_bfe_u32 v3, v2, 20, 1
	s_mov_b32 s12, 0x487ffff
	v_add3_u32 v3, v2, v3, s12
	s_mov_b64 s[8:9], exec
	v_lshrrev_b32_e32 v3, 20, v3
	s_or_saveexec_b64 s[10:11], s[10:11]
                                        ; implicit-def: $sgpr12
	s_xor_b64 exec, exec, s[10:11]
	s_cbranch_execnz .LBB8_574
.LBB8_341:
	s_or_b64 exec, exec, s[10:11]
	v_mov_b32_e32 v6, s12
	s_and_saveexec_b64 s[10:11], s[8:9]
.LBB8_342:
	v_lshrrev_b32_e32 v2, 24, v2
	s_movk_i32 s8, 0x80
	v_and_or_b32 v6, v2, s8, v3
.LBB8_343:
	s_or_b64 exec, exec, s[10:11]
.LBB8_344:
	s_or_b64 exec, exec, s[6:7]
	global_store_byte v[4:5], v6, off
.LBB8_345:
	s_mov_b64 s[6:7], -1
.LBB8_346:
	s_mov_b64 s[8:9], 0
.LBB8_347:
	s_and_b64 vcc, exec, s[8:9]
	s_cbranch_vccz .LBB8_388
; %bb.348:
	v_mov_b32_e32 v2, 22
	v_cmp_gt_i16_sdwa s[10:11], v41, v2 src0_sel:BYTE_0 src1_sel:DWORD
	s_mov_b64 s[8:9], -1
	s_and_b64 vcc, exec, s[10:11]
	s_cbranch_vccz .LBB8_380
; %bb.349:
	v_mov_b32_e32 v2, 24
	v_cmp_lt_i16_sdwa s[8:9], v41, v2 src0_sel:BYTE_0 src1_sel:DWORD
	s_mov_b64 s[6:7], -1
	s_and_b64 vcc, exec, s[8:9]
	s_cbranch_vccnz .LBB8_369
; %bb.350:
	v_cmp_gt_i16_sdwa s[8:9], v41, v2 src0_sel:BYTE_0 src1_sel:DWORD
	s_and_b64 vcc, exec, s[8:9]
	s_cbranch_vccz .LBB8_358
; %bb.351:
	v_cvt_f32_f64_e32 v2, v[0:1]
	v_and_b32_e32 v3, 0x7fffffff, v2
	s_mov_b32 s6, 0x47800000
	v_cmp_gt_u32_e32 vcc, s6, v3
	v_mov_b32_e32 v6, 0x80
	s_and_saveexec_b64 s[6:7], vcc
	s_cbranch_execz .LBB8_357
; %bb.352:
	s_mov_b32 s8, 0x37ffffff
	v_cmp_lt_u32_e32 vcc, s8, v3
	s_mov_b64 s[8:9], 0
                                        ; implicit-def: $vgpr3
	s_and_saveexec_b64 s[10:11], vcc
	s_xor_b64 s[10:11], exec, s[10:11]
	s_cbranch_execz .LBB8_576
; %bb.353:
	v_bfe_u32 v3, v2, 21, 1
	s_mov_b32 s12, 0x88fffff
	v_add3_u32 v3, v2, v3, s12
	s_mov_b64 s[8:9], exec
	v_lshrrev_b32_e32 v3, 21, v3
	s_or_saveexec_b64 s[10:11], s[10:11]
                                        ; implicit-def: $sgpr12
	s_xor_b64 exec, exec, s[10:11]
	s_cbranch_execnz .LBB8_577
.LBB8_354:
	s_or_b64 exec, exec, s[10:11]
	v_mov_b32_e32 v6, s12
	s_and_saveexec_b64 s[10:11], s[8:9]
.LBB8_355:
	v_lshrrev_b32_e32 v2, 24, v2
	s_movk_i32 s8, 0x80
	v_and_or_b32 v6, v2, s8, v3
.LBB8_356:
	s_or_b64 exec, exec, s[10:11]
.LBB8_357:
	s_or_b64 exec, exec, s[6:7]
	s_mov_b64 s[6:7], 0
	global_store_byte v[4:5], v6, off
.LBB8_358:
	s_and_b64 vcc, exec, s[6:7]
	s_cbranch_vccz .LBB8_368
; %bb.359:
	v_cvt_f32_f64_e32 v2, v[0:1]
	v_and_b32_e32 v6, 0x7fffffff, v2
	s_mov_b32 s6, 0x43f00000
	v_cmp_gt_u32_e32 vcc, s6, v6
                                        ; implicit-def: $vgpr3
	s_and_saveexec_b64 s[6:7], vcc
	s_xor_b64 s[6:7], exec, s[6:7]
	s_cbranch_execz .LBB8_365
; %bb.360:
	s_mov_b32 s8, 0x3c7fffff
	v_cmp_lt_u32_e32 vcc, s8, v6
                                        ; implicit-def: $vgpr3
	s_and_saveexec_b64 s[8:9], vcc
	s_xor_b64 s[8:9], exec, s[8:9]
; %bb.361:
	v_bfe_u32 v3, v2, 20, 1
	s_mov_b32 s10, 0x407ffff
	v_add3_u32 v3, v2, v3, s10
	v_lshrrev_b32_e32 v6, 20, v3
	v_and_b32_e32 v3, 0xff00000, v3
	s_mov_b32 s10, 0x7f00000
	v_mov_b32_e32 v7, 0x7e
	v_cmp_ne_u32_e32 vcc, s10, v3
	v_cndmask_b32_e32 v3, v7, v6, vcc
; %bb.362:
	s_andn2_saveexec_b64 s[8:9], s[8:9]
; %bb.363:
	s_mov_b32 s10, 0x46800000
	v_add_f32_e64 v3, |v2|, s10
; %bb.364:
	s_or_b64 exec, exec, s[8:9]
                                        ; implicit-def: $vgpr6
.LBB8_365:
	s_andn2_saveexec_b64 s[6:7], s[6:7]
; %bb.366:
	s_mov_b32 s8, 0x7f800000
	v_mov_b32_e32 v3, 0x7e
	v_mov_b32_e32 v7, 0x7f
	v_cmp_lt_u32_e32 vcc, s8, v6
	v_cndmask_b32_e32 v3, v3, v7, vcc
; %bb.367:
	s_or_b64 exec, exec, s[6:7]
	v_lshrrev_b32_e32 v2, 24, v2
	s_movk_i32 s6, 0x80
	v_and_or_b32 v2, v2, s6, v3
	global_store_byte v[4:5], v2, off
.LBB8_368:
	s_mov_b64 s[6:7], 0
.LBB8_369:
	s_andn2_b64 vcc, exec, s[6:7]
	s_cbranch_vccnz .LBB8_379
; %bb.370:
	v_cvt_f32_f64_e32 v2, v[0:1]
	v_and_b32_e32 v6, 0x7fffffff, v2
	s_mov_b32 s6, 0x47800000
	v_cmp_gt_u32_e32 vcc, s6, v6
                                        ; implicit-def: $vgpr3
	s_and_saveexec_b64 s[6:7], vcc
	s_xor_b64 s[6:7], exec, s[6:7]
	s_cbranch_execz .LBB8_376
; %bb.371:
	s_mov_b32 s8, 0x387fffff
	v_cmp_lt_u32_e32 vcc, s8, v6
                                        ; implicit-def: $vgpr3
	s_and_saveexec_b64 s[8:9], vcc
	s_xor_b64 s[8:9], exec, s[8:9]
; %bb.372:
	v_bfe_u32 v3, v2, 21, 1
	s_mov_b32 s10, 0x80fffff
	v_add3_u32 v3, v2, v3, s10
	v_lshrrev_b32_e32 v3, 21, v3
; %bb.373:
	s_andn2_saveexec_b64 s[8:9], s[8:9]
; %bb.374:
	s_mov_b32 s10, 0x43000000
	v_add_f32_e64 v3, |v2|, s10
; %bb.375:
	s_or_b64 exec, exec, s[8:9]
                                        ; implicit-def: $vgpr6
.LBB8_376:
	s_andn2_saveexec_b64 s[6:7], s[6:7]
; %bb.377:
	s_mov_b32 s8, 0x7f800000
	v_mov_b32_e32 v3, 0x7c
	v_mov_b32_e32 v7, 0x7f
	v_cmp_lt_u32_e32 vcc, s8, v6
	v_cndmask_b32_e32 v3, v3, v7, vcc
; %bb.378:
	s_or_b64 exec, exec, s[6:7]
	v_lshrrev_b32_e32 v2, 24, v2
	s_movk_i32 s6, 0x80
	v_and_or_b32 v2, v2, s6, v3
	global_store_byte v[4:5], v2, off
.LBB8_379:
	s_mov_b64 s[8:9], 0
	s_mov_b64 s[6:7], -1
.LBB8_380:
	s_andn2_b64 vcc, exec, s[8:9]
	s_cbranch_vccnz .LBB8_388
; %bb.381:
	v_mov_b32_e32 v2, 14
	v_cmp_gt_i16_sdwa s[10:11], v41, v2 src0_sel:BYTE_0 src1_sel:DWORD
	s_mov_b64 s[8:9], -1
	s_and_b64 vcc, exec, s[10:11]
	s_cbranch_vccz .LBB8_385
; %bb.382:
	v_mov_b32_e32 v2, 15
	v_cmp_eq_u16_sdwa s[8:9], v41, v2 src0_sel:BYTE_0 src1_sel:DWORD
	s_mov_b64 s[4:5], -1
	s_and_b64 vcc, exec, s[8:9]
	s_cbranch_vccz .LBB8_384
; %bb.383:
	v_cvt_f32_f64_e32 v2, v[0:1]
	v_bfe_u32 v3, v2, 16, 1
	s_movk_i32 s4, 0x7fff
	v_add3_u32 v3, v2, v3, s4
	v_lshrrev_b32_e32 v3, 16, v3
	v_mov_b32_e32 v6, 0x7fc0
	v_cmp_o_f32_e32 vcc, v2, v2
	v_cndmask_b32_e32 v2, v6, v3, vcc
	global_store_short v[4:5], v2, off
	s_mov_b64 s[6:7], -1
	s_mov_b64 s[4:5], 0
.LBB8_384:
	s_mov_b64 s[8:9], 0
.LBB8_385:
	s_and_b64 vcc, exec, s[8:9]
	s_cbranch_vccz .LBB8_388
; %bb.386:
	v_mov_b32_e32 v2, 11
	v_cmp_eq_u16_sdwa s[8:9], v41, v2 src0_sel:BYTE_0 src1_sel:DWORD
	s_mov_b64 s[4:5], -1
	s_and_b64 vcc, exec, s[8:9]
	s_cbranch_vccz .LBB8_388
; %bb.387:
	v_cmp_neq_f64_e32 vcc, 0, v[0:1]
	s_mov_b64 s[4:5], 0
	v_cndmask_b32_e64 v2, 0, 1, vcc
	s_mov_b64 s[6:7], -1
	global_store_byte v[4:5], v2, off
.LBB8_388:
	s_mov_b64 s[8:9], 0
.LBB8_389:
	s_and_b64 vcc, exec, s[8:9]
	s_cbranch_vccz .LBB8_428
; %bb.390:
	v_mov_b32_e32 v2, 5
	v_cmp_lt_i16_sdwa s[8:9], v41, v2 src0_sel:BYTE_0 src1_sel:DWORD
	s_mov_b64 s[6:7], -1
	s_and_b64 vcc, exec, s[8:9]
	s_cbranch_vccnz .LBB8_411
; %bb.391:
	v_mov_b32_e32 v2, 8
	v_cmp_lt_i16_sdwa s[8:9], v41, v2 src0_sel:BYTE_0 src1_sel:DWORD
	s_and_b64 vcc, exec, s[8:9]
	s_cbranch_vccnz .LBB8_401
; %bb.392:
	v_mov_b32_e32 v2, 9
	v_cmp_lt_i16_sdwa s[8:9], v41, v2 src0_sel:BYTE_0 src1_sel:DWORD
	s_and_b64 vcc, exec, s[8:9]
	s_cbranch_vccnz .LBB8_398
; %bb.393:
	v_cmp_gt_i16_sdwa s[8:9], v41, v2 src0_sel:BYTE_0 src1_sel:DWORD
	s_and_b64 vcc, exec, s[8:9]
	s_cbranch_vccz .LBB8_395
; %bb.394:
	v_mov_b32_e32 v2, 0
	v_mov_b32_e32 v3, v2
	s_mov_b64 s[6:7], 0
	global_store_dwordx4 v[4:5], v[0:3], off
.LBB8_395:
	s_andn2_b64 vcc, exec, s[6:7]
	s_cbranch_vccnz .LBB8_397
; %bb.396:
	v_cvt_f32_f64_e32 v2, v[0:1]
	v_mov_b32_e32 v3, 0
	global_store_dwordx2 v[4:5], v[2:3], off
.LBB8_397:
	s_mov_b64 s[6:7], 0
.LBB8_398:
	s_andn2_b64 vcc, exec, s[6:7]
	s_cbranch_vccnz .LBB8_400
; %bb.399:
	v_cvt_f32_f64_e32 v2, v[0:1]
	v_cvt_f16_f32_e32 v2, v2
	global_store_dword v[4:5], v2, off
.LBB8_400:
	s_mov_b64 s[6:7], 0
.LBB8_401:
	s_andn2_b64 vcc, exec, s[6:7]
	s_cbranch_vccnz .LBB8_410
; %bb.402:
	v_mov_b32_e32 v2, 6
	v_cmp_lt_i16_sdwa s[8:9], v41, v2 src0_sel:BYTE_0 src1_sel:DWORD
	s_mov_b64 s[6:7], -1
	s_and_b64 vcc, exec, s[8:9]
	s_cbranch_vccnz .LBB8_408
; %bb.403:
	v_cmp_gt_i16_sdwa s[8:9], v41, v2 src0_sel:BYTE_0 src1_sel:DWORD
	s_and_b64 vcc, exec, s[8:9]
	s_cbranch_vccz .LBB8_405
; %bb.404:
	s_mov_b64 s[6:7], 0
	global_store_dwordx2 v[4:5], v[0:1], off
.LBB8_405:
	s_andn2_b64 vcc, exec, s[6:7]
	s_cbranch_vccnz .LBB8_407
; %bb.406:
	v_cvt_f32_f64_e32 v2, v[0:1]
	global_store_dword v[4:5], v2, off
.LBB8_407:
	s_mov_b64 s[6:7], 0
.LBB8_408:
	s_andn2_b64 vcc, exec, s[6:7]
	s_cbranch_vccnz .LBB8_410
; %bb.409:
	v_cvt_f32_f64_e32 v2, v[0:1]
	v_cvt_f16_f32_e32 v2, v2
	global_store_short v[4:5], v2, off
.LBB8_410:
	s_mov_b64 s[6:7], 0
.LBB8_411:
	s_andn2_b64 vcc, exec, s[6:7]
	s_cbranch_vccnz .LBB8_427
; %bb.412:
	v_mov_b32_e32 v2, 2
	v_cmp_lt_i16_sdwa s[8:9], v41, v2 src0_sel:BYTE_0 src1_sel:DWORD
	s_mov_b64 s[6:7], -1
	s_and_b64 vcc, exec, s[8:9]
	s_cbranch_vccnz .LBB8_422
; %bb.413:
	v_mov_b32_e32 v2, 3
	v_cmp_lt_i16_sdwa s[8:9], v41, v2 src0_sel:BYTE_0 src1_sel:DWORD
	s_and_b64 vcc, exec, s[8:9]
	s_cbranch_vccnz .LBB8_419
; %bb.414:
	v_cmp_gt_i16_sdwa s[8:9], v41, v2 src0_sel:BYTE_0 src1_sel:DWORD
	s_and_b64 vcc, exec, s[8:9]
	s_cbranch_vccz .LBB8_416
; %bb.415:
	v_trunc_f64_e32 v[2:3], v[0:1]
	s_movk_i32 s6, 0xffe0
	v_ldexp_f64 v[6:7], v[2:3], s6
	v_floor_f64_e32 v[6:7], v[6:7]
	v_fmac_f64_e32 v[2:3], 0xc1f00000, v[6:7]
	v_cvt_i32_f64_e32 v9, v[6:7]
	v_cvt_u32_f64_e32 v8, v[2:3]
	s_mov_b64 s[6:7], 0
	global_store_dwordx2 v[4:5], v[8:9], off
.LBB8_416:
	s_andn2_b64 vcc, exec, s[6:7]
	s_cbranch_vccnz .LBB8_418
; %bb.417:
	v_cvt_i32_f64_e32 v2, v[0:1]
	global_store_dword v[4:5], v2, off
.LBB8_418:
	s_mov_b64 s[6:7], 0
.LBB8_419:
	s_andn2_b64 vcc, exec, s[6:7]
	s_cbranch_vccnz .LBB8_421
; %bb.420:
	v_cvt_i32_f64_e32 v2, v[0:1]
	global_store_short v[4:5], v2, off
.LBB8_421:
	s_mov_b64 s[6:7], 0
.LBB8_422:
	s_andn2_b64 vcc, exec, s[6:7]
	s_cbranch_vccnz .LBB8_427
; %bb.423:
	v_mov_b32_e32 v2, 0
	v_cmp_gt_i16_sdwa s[8:9], v41, v2 src0_sel:BYTE_0 src1_sel:DWORD
	s_mov_b64 s[6:7], -1
	s_and_b64 vcc, exec, s[8:9]
	s_cbranch_vccz .LBB8_425
; %bb.424:
	v_cvt_i32_f64_e32 v2, v[0:1]
	s_mov_b64 s[6:7], 0
	global_store_byte v[4:5], v2, off
.LBB8_425:
	s_andn2_b64 vcc, exec, s[6:7]
	s_cbranch_vccnz .LBB8_427
; %bb.426:
	v_trunc_f64_e32 v[0:1], v[0:1]
	s_movk_i32 s6, 0xffe0
	v_ldexp_f64 v[2:3], v[0:1], s6
	v_floor_f64_e32 v[2:3], v[2:3]
	v_fmac_f64_e32 v[0:1], 0xc1f00000, v[2:3]
	v_cvt_u32_f64_e32 v0, v[0:1]
	global_store_byte v[4:5], v0, off
.LBB8_427:
	s_mov_b64 s[6:7], -1
.LBB8_428:
	s_andn2_b64 vcc, exec, s[6:7]
	s_cbranch_vccnz .LBB8_430
; %bb.429:
	v_add_u32_e32 v45, 0x80, v45
	s_mov_b64 s[6:7], -1
	s_branch .LBB8_543
.LBB8_430:
	s_mov_b64 s[6:7], 0
	s_branch .LBB8_542
.LBB8_431:
	s_mov_b64 s[72:73], -1
                                        ; implicit-def: $vgpr0_vgpr1
.LBB8_432:
	s_mov_b64 s[6:7], 0
.LBB8_433:
	s_and_b64 vcc, exec, s[6:7]
	s_cbranch_vccz .LBB8_437
; %bb.434:
	v_cmp_eq_u16_e32 vcc, 29, v44
	s_cbranch_vccz .LBB8_436
; %bb.435:
	global_load_dwordx2 v[0:1], v[2:3], off
	s_mov_b64 s[4:5], -1
	s_mov_b64 s[72:73], 0
	s_mov_b64 s[6:7], 0
	s_waitcnt vmcnt(0)
	v_cvt_f64_u32_e32 v[4:5], v1
	v_cvt_f64_u32_e32 v[0:1], v0
	v_ldexp_f64 v[4:5], v[4:5], 32
	v_add_f64 v[0:1], v[4:5], v[0:1]
	s_branch .LBB8_438
.LBB8_436:
	s_mov_b64 s[72:73], -1
                                        ; implicit-def: $vgpr0_vgpr1
.LBB8_437:
	s_mov_b64 s[6:7], 0
.LBB8_438:
	s_and_b64 vcc, exec, s[6:7]
	s_cbranch_vccz .LBB8_456
; %bb.439:
	v_cmp_gt_i16_e32 vcc, 27, v44
	s_cbranch_vccnz .LBB8_442
; %bb.440:
	v_cmp_lt_i16_e32 vcc, 27, v44
	s_cbranch_vccz .LBB8_443
; %bb.441:
	global_load_dword v0, v[2:3], off
	s_mov_b64 s[4:5], 0
	s_waitcnt vmcnt(0)
	v_cvt_f64_u32_e32 v[0:1], v0
	s_branch .LBB8_444
.LBB8_442:
	s_mov_b64 s[4:5], -1
                                        ; implicit-def: $vgpr0_vgpr1
	s_branch .LBB8_447
.LBB8_443:
	s_mov_b64 s[4:5], -1
                                        ; implicit-def: $vgpr0_vgpr1
.LBB8_444:
	s_andn2_b64 vcc, exec, s[4:5]
	s_cbranch_vccnz .LBB8_446
; %bb.445:
	global_load_ushort v0, v[2:3], off
	s_waitcnt vmcnt(0)
	v_cvt_f64_u32_e32 v[0:1], v0
.LBB8_446:
	s_mov_b64 s[4:5], 0
.LBB8_447:
	s_andn2_b64 vcc, exec, s[4:5]
	s_cbranch_vccnz .LBB8_455
; %bb.448:
	global_load_ubyte v4, v[2:3], off
	s_movk_i32 s4, 0x7f
                                        ; implicit-def: $sgpr6_sgpr7
	s_waitcnt vmcnt(0)
	v_cmp_lt_i16_e32 vcc, s4, v4
	s_mov_b64 s[4:5], 0
	s_and_saveexec_b64 s[8:9], vcc
	s_xor_b64 s[8:9], exec, s[8:9]
	s_cbranch_execz .LBB8_469
; %bb.449:
	s_movk_i32 s4, 0x80
	v_cmp_eq_u16_e32 vcc, s4, v4
	s_mov_b64 s[10:11], -1
                                        ; implicit-def: $sgpr6_sgpr7
	s_and_saveexec_b64 s[4:5], vcc
; %bb.450:
	s_mov_b32 s7, 0x7ff80000
	s_brev_b32 s6, 4
	s_xor_b64 s[10:11], exec, -1
; %bb.451:
	s_or_b64 exec, exec, s[4:5]
	s_and_b64 s[4:5], s[10:11], exec
	s_or_saveexec_b64 s[8:9], s[8:9]
	v_pk_mov_b32 v[0:1], s[6:7], s[6:7] op_sel:[0,1]
	s_xor_b64 exec, exec, s[8:9]
	s_cbranch_execnz .LBB8_470
.LBB8_452:
	s_or_b64 exec, exec, s[8:9]
	s_and_saveexec_b64 s[6:7], s[4:5]
	s_cbranch_execz .LBB8_454
.LBB8_453:
	v_and_b32_e32 v1, 0xffff, v4
	v_lshlrev_b32_e32 v0, 24, v4
	v_and_b32_e32 v4, 7, v1
	v_ffbh_u32_e32 v6, v4
	v_min_u32_e32 v6, 32, v6
	v_subrev_u32_e32 v7, 28, v6
	v_bfe_u32 v5, v1, 3, 4
	v_lshlrev_b32_e32 v1, v7, v1
	v_sub_u32_e32 v6, 29, v6
	v_and_b32_e32 v1, 7, v1
	v_cmp_eq_u32_e32 vcc, 0, v5
	v_cndmask_b32_e32 v5, v5, v6, vcc
	v_cndmask_b32_e32 v1, v4, v1, vcc
	v_mov_b32_e32 v4, 0x3b800000
	v_lshlrev_b32_e32 v1, 20, v1
	v_and_b32_e32 v0, 0x80000000, v0
	v_lshl_add_u32 v4, v5, 23, v4
	v_or3_b32 v0, v0, v4, v1
	v_cvt_f64_f32_e32 v[0:1], v0
.LBB8_454:
	s_or_b64 exec, exec, s[6:7]
.LBB8_455:
	s_mov_b64 s[4:5], -1
.LBB8_456:
	s_mov_b64 s[6:7], 0
.LBB8_457:
	s_and_b64 vcc, exec, s[6:7]
	s_cbranch_vccz .LBB8_492
; %bb.458:
	v_cmp_lt_i16_e32 vcc, 22, v44
	s_cbranch_vccz .LBB8_468
; %bb.459:
	v_cmp_gt_i16_e32 vcc, 24, v44
	s_cbranch_vccnz .LBB8_471
; %bb.460:
	v_cmp_lt_i16_e32 vcc, 24, v44
	s_cbranch_vccz .LBB8_472
; %bb.461:
	global_load_ubyte v4, v[2:3], off
	s_movk_i32 s4, 0x7f
                                        ; implicit-def: $sgpr6_sgpr7
	s_waitcnt vmcnt(0)
	v_cmp_lt_i16_e32 vcc, s4, v4
	s_mov_b64 s[4:5], 0
	s_and_saveexec_b64 s[8:9], vcc
	s_xor_b64 s[8:9], exec, s[8:9]
	s_cbranch_execz .LBB8_484
; %bb.462:
	s_movk_i32 s4, 0x80
	v_cmp_eq_u16_e32 vcc, s4, v4
	s_mov_b64 s[10:11], -1
                                        ; implicit-def: $sgpr6_sgpr7
	s_and_saveexec_b64 s[4:5], vcc
; %bb.463:
	s_mov_b32 s7, 0x7ff80000
	s_brev_b32 s6, 4
	s_xor_b64 s[10:11], exec, -1
; %bb.464:
	s_or_b64 exec, exec, s[4:5]
	s_and_b64 s[4:5], s[10:11], exec
	s_or_saveexec_b64 s[8:9], s[8:9]
	v_pk_mov_b32 v[0:1], s[6:7], s[6:7] op_sel:[0,1]
	s_xor_b64 exec, exec, s[8:9]
	s_cbranch_execnz .LBB8_485
.LBB8_465:
	s_or_b64 exec, exec, s[8:9]
	s_and_saveexec_b64 s[6:7], s[4:5]
	s_cbranch_execz .LBB8_467
.LBB8_466:
	v_and_b32_e32 v1, 0xffff, v4
	v_lshlrev_b32_e32 v0, 24, v4
	v_and_b32_e32 v4, 3, v1
	v_ffbh_u32_e32 v6, v4
	v_min_u32_e32 v6, 32, v6
	v_subrev_u32_e32 v7, 29, v6
	v_bfe_u32 v5, v1, 2, 5
	v_lshlrev_b32_e32 v1, v7, v1
	v_sub_u32_e32 v6, 30, v6
	v_and_b32_e32 v1, 3, v1
	v_cmp_eq_u32_e32 vcc, 0, v5
	v_cndmask_b32_e32 v5, v5, v6, vcc
	v_cndmask_b32_e32 v1, v4, v1, vcc
	v_mov_b32_e32 v4, 0x37800000
	v_lshlrev_b32_e32 v1, 21, v1
	v_and_b32_e32 v0, 0x80000000, v0
	v_lshl_add_u32 v4, v5, 23, v4
	v_or3_b32 v0, v0, v4, v1
	v_cvt_f64_f32_e32 v[0:1], v0
.LBB8_467:
	s_or_b64 exec, exec, s[6:7]
	s_mov_b64 s[4:5], 0
	s_branch .LBB8_473
.LBB8_468:
	s_mov_b64 s[6:7], -1
                                        ; implicit-def: $vgpr0_vgpr1
	s_branch .LBB8_479
.LBB8_469:
	s_or_saveexec_b64 s[8:9], s[8:9]
	v_pk_mov_b32 v[0:1], s[6:7], s[6:7] op_sel:[0,1]
	s_xor_b64 exec, exec, s[8:9]
	s_cbranch_execz .LBB8_452
.LBB8_470:
	v_cmp_ne_u16_e32 vcc, 0, v4
	s_andn2_b64 s[4:5], s[4:5], exec
	s_and_b64 s[6:7], vcc, exec
	v_pk_mov_b32 v[0:1], 0, 0
	s_or_b64 s[4:5], s[4:5], s[6:7]
	s_or_b64 exec, exec, s[8:9]
	s_and_saveexec_b64 s[6:7], s[4:5]
	s_cbranch_execnz .LBB8_453
	s_branch .LBB8_454
.LBB8_471:
	s_mov_b64 s[4:5], -1
                                        ; implicit-def: $vgpr0_vgpr1
	s_branch .LBB8_476
.LBB8_472:
	s_mov_b64 s[4:5], -1
                                        ; implicit-def: $vgpr0_vgpr1
.LBB8_473:
	s_and_b64 vcc, exec, s[4:5]
	s_cbranch_vccz .LBB8_475
; %bb.474:
	global_load_ubyte v0, v[2:3], off
	s_mov_b32 s4, 0x7f800000
	s_waitcnt vmcnt(0)
	v_lshlrev_b32_e32 v0, 24, v0
	v_and_b32_e32 v1, 0x7f000000, v0
	v_ffbh_u32_e32 v4, v1
	v_min_u32_e32 v4, 32, v4
	v_sub_u32_e64 v4, v4, 4 clamp
	v_lshlrev_b32_e32 v6, v4, v1
	v_lshlrev_b32_e32 v4, 23, v4
	v_lshrrev_b32_e32 v6, 4, v6
	v_add_u32_e32 v5, 0x1000000, v1
	v_sub_u32_e32 v4, v6, v4
	v_ashrrev_i32_e32 v5, 8, v5
	v_add_u32_e32 v4, 0x3c000000, v4
	v_and_or_b32 v4, v5, s4, v4
	v_cmp_ne_u32_e32 vcc, 0, v1
	v_cndmask_b32_e32 v1, 0, v4, vcc
	s_brev_b32 s4, 1
	v_and_or_b32 v0, v0, s4, v1
	v_cvt_f64_f32_e32 v[0:1], v0
.LBB8_475:
	s_mov_b64 s[4:5], 0
.LBB8_476:
	s_andn2_b64 vcc, exec, s[4:5]
	s_cbranch_vccnz .LBB8_478
; %bb.477:
	global_load_ubyte v0, v[2:3], off
	s_movk_i32 s4, 0x7f00
	s_brev_b32 s5, 16
	s_waitcnt vmcnt(0)
	v_lshlrev_b16_e32 v1, 8, v0
	v_lshlrev_b32_e32 v0, 25, v0
	v_lshrrev_b32_e32 v4, 4, v0
	v_and_or_b32 v5, v1, s4, 0.5
	v_or_b32_e32 v4, 0x70000000, v4
	v_add_f32_e32 v5, -0.5, v5
	v_mul_f32_e32 v4, 0x7800000, v4
	v_cmp_gt_u32_e32 vcc, s5, v0
	v_bfe_i32 v1, v1, 0, 16
	v_cndmask_b32_e32 v0, v4, v5, vcc
	s_brev_b32 s4, 1
	v_and_or_b32 v0, v1, s4, v0
	v_cvt_f64_f32_e32 v[0:1], v0
.LBB8_478:
	s_mov_b64 s[6:7], 0
	s_mov_b64 s[4:5], -1
.LBB8_479:
	s_andn2_b64 vcc, exec, s[6:7]
	s_cbranch_vccnz .LBB8_492
; %bb.480:
	v_cmp_lt_i16_e32 vcc, 14, v44
	s_cbranch_vccz .LBB8_483
; %bb.481:
	v_cmp_eq_u16_e32 vcc, 15, v44
	s_cbranch_vccz .LBB8_486
; %bb.482:
	global_load_ushort v0, v[2:3], off
	s_mov_b64 s[4:5], -1
	s_mov_b64 s[72:73], 0
	s_waitcnt vmcnt(0)
	v_lshlrev_b32_e32 v0, 16, v0
	v_cvt_f64_f32_e32 v[0:1], v0
	s_branch .LBB8_487
.LBB8_483:
	s_mov_b64 s[6:7], -1
                                        ; implicit-def: $vgpr0_vgpr1
	s_branch .LBB8_488
.LBB8_484:
	s_or_saveexec_b64 s[8:9], s[8:9]
	v_pk_mov_b32 v[0:1], s[6:7], s[6:7] op_sel:[0,1]
	s_xor_b64 exec, exec, s[8:9]
	s_cbranch_execz .LBB8_465
.LBB8_485:
	v_cmp_ne_u16_e32 vcc, 0, v4
	s_andn2_b64 s[4:5], s[4:5], exec
	s_and_b64 s[6:7], vcc, exec
	v_pk_mov_b32 v[0:1], 0, 0
	s_or_b64 s[4:5], s[4:5], s[6:7]
	s_or_b64 exec, exec, s[8:9]
	s_and_saveexec_b64 s[6:7], s[4:5]
	s_cbranch_execnz .LBB8_466
	s_branch .LBB8_467
.LBB8_486:
	s_mov_b64 s[72:73], -1
                                        ; implicit-def: $vgpr0_vgpr1
.LBB8_487:
	s_mov_b64 s[6:7], 0
.LBB8_488:
	s_and_b64 vcc, exec, s[6:7]
	s_cbranch_vccz .LBB8_492
; %bb.489:
	v_cmp_eq_u16_e32 vcc, 11, v44
	s_cbranch_vccz .LBB8_491
; %bb.490:
	global_load_ubyte v1, v[2:3], off
	v_mov_b32_e32 v4, 0x3ff00000
	v_mov_b32_e32 v0, 0
	s_mov_b64 s[4:5], -1
	s_mov_b64 s[72:73], 0
	s_waitcnt vmcnt(0)
	v_cmp_ne_u16_e32 vcc, 0, v1
	v_cndmask_b32_e32 v1, 0, v4, vcc
	s_branch .LBB8_492
.LBB8_491:
	s_mov_b64 s[72:73], -1
                                        ; implicit-def: $vgpr0_vgpr1
.LBB8_492:
	s_branch .LBB8_295
.LBB8_493:
	v_cmp_gt_i16_e32 vcc, 5, v44
	s_cbranch_vccnz .LBB8_498
; %bb.494:
	v_cmp_gt_i16_e32 vcc, 8, v44
	s_cbranch_vccnz .LBB8_499
; %bb.495:
	;; [unrolled: 3-line block ×3, first 2 shown]
	v_cmp_lt_i16_e32 vcc, 9, v44
	s_cbranch_vccz .LBB8_501
; %bb.497:
	global_load_dwordx2 v[0:1], v[2:3], off
	s_mov_b64 s[4:5], 0
	s_branch .LBB8_502
.LBB8_498:
	s_mov_b64 s[4:5], -1
                                        ; implicit-def: $vgpr0_vgpr1
	s_branch .LBB8_520
.LBB8_499:
	s_mov_b64 s[4:5], -1
                                        ; implicit-def: $vgpr0_vgpr1
	s_branch .LBB8_508
.LBB8_500:
	s_mov_b64 s[4:5], -1
                                        ; implicit-def: $vgpr0_vgpr1
	s_branch .LBB8_505
.LBB8_501:
	s_mov_b64 s[4:5], -1
                                        ; implicit-def: $vgpr0_vgpr1
.LBB8_502:
	s_andn2_b64 vcc, exec, s[4:5]
	s_cbranch_vccnz .LBB8_504
; %bb.503:
	global_load_dword v0, v[2:3], off
	s_waitcnt vmcnt(0)
	v_cvt_f64_f32_e32 v[0:1], v0
.LBB8_504:
	s_mov_b64 s[4:5], 0
.LBB8_505:
	s_andn2_b64 vcc, exec, s[4:5]
	s_cbranch_vccnz .LBB8_507
; %bb.506:
	global_load_dword v0, v[2:3], off
	s_waitcnt vmcnt(0)
	v_cvt_f32_f16_e32 v0, v0
	v_cvt_f64_f32_e32 v[0:1], v0
.LBB8_507:
	s_mov_b64 s[4:5], 0
.LBB8_508:
	s_andn2_b64 vcc, exec, s[4:5]
	s_cbranch_vccnz .LBB8_519
; %bb.509:
	v_cmp_gt_i16_e32 vcc, 6, v44
	s_cbranch_vccnz .LBB8_512
; %bb.510:
	v_cmp_lt_i16_e32 vcc, 6, v44
	s_cbranch_vccz .LBB8_513
; %bb.511:
	global_load_dwordx2 v[0:1], v[2:3], off
	s_mov_b64 s[4:5], 0
	s_branch .LBB8_514
.LBB8_512:
	s_mov_b64 s[4:5], -1
                                        ; implicit-def: $vgpr0_vgpr1
	s_branch .LBB8_517
.LBB8_513:
	s_mov_b64 s[4:5], -1
                                        ; implicit-def: $vgpr0_vgpr1
.LBB8_514:
	s_andn2_b64 vcc, exec, s[4:5]
	s_cbranch_vccnz .LBB8_516
; %bb.515:
	global_load_dword v0, v[2:3], off
	s_waitcnt vmcnt(0)
	v_cvt_f64_f32_e32 v[0:1], v0
.LBB8_516:
	s_mov_b64 s[4:5], 0
.LBB8_517:
	s_andn2_b64 vcc, exec, s[4:5]
	s_cbranch_vccnz .LBB8_519
; %bb.518:
	global_load_ushort v0, v[2:3], off
	s_waitcnt vmcnt(0)
	v_cvt_f32_f16_e32 v0, v0
	v_cvt_f64_f32_e32 v[0:1], v0
.LBB8_519:
	s_mov_b64 s[4:5], 0
.LBB8_520:
	s_andn2_b64 vcc, exec, s[4:5]
	s_cbranch_vccnz .LBB8_540
; %bb.521:
	v_cmp_gt_i16_e32 vcc, 2, v44
	s_cbranch_vccnz .LBB8_525
; %bb.522:
	v_cmp_gt_i16_e32 vcc, 3, v44
	s_cbranch_vccnz .LBB8_526
; %bb.523:
	v_cmp_lt_i16_e32 vcc, 3, v44
	s_cbranch_vccz .LBB8_527
; %bb.524:
	global_load_dwordx2 v[0:1], v[2:3], off
	s_mov_b64 s[4:5], 0
	s_waitcnt vmcnt(0)
	v_cvt_f64_i32_e32 v[4:5], v1
	v_cvt_f64_u32_e32 v[0:1], v0
	v_ldexp_f64 v[4:5], v[4:5], 32
	v_add_f64 v[0:1], v[4:5], v[0:1]
	s_branch .LBB8_528
.LBB8_525:
	s_mov_b64 s[4:5], -1
                                        ; implicit-def: $vgpr0_vgpr1
	s_branch .LBB8_534
.LBB8_526:
	s_mov_b64 s[4:5], -1
                                        ; implicit-def: $vgpr0_vgpr1
	s_branch .LBB8_531
.LBB8_527:
	s_mov_b64 s[4:5], -1
                                        ; implicit-def: $vgpr0_vgpr1
.LBB8_528:
	s_andn2_b64 vcc, exec, s[4:5]
	s_cbranch_vccnz .LBB8_530
; %bb.529:
	global_load_dword v0, v[2:3], off
	s_waitcnt vmcnt(0)
	v_cvt_f64_i32_e32 v[0:1], v0
.LBB8_530:
	s_mov_b64 s[4:5], 0
.LBB8_531:
	s_andn2_b64 vcc, exec, s[4:5]
	s_cbranch_vccnz .LBB8_533
; %bb.532:
	global_load_sshort v0, v[2:3], off
	s_waitcnt vmcnt(0)
	v_cvt_f64_i32_e32 v[0:1], v0
.LBB8_533:
	s_mov_b64 s[4:5], 0
.LBB8_534:
	s_andn2_b64 vcc, exec, s[4:5]
	s_cbranch_vccnz .LBB8_540
; %bb.535:
	v_cmp_lt_i16_e32 vcc, 0, v44
	s_cbranch_vccz .LBB8_537
; %bb.536:
	global_load_sbyte v0, v[2:3], off
	s_mov_b64 s[4:5], 0
	s_waitcnt vmcnt(0)
	v_cvt_f64_i32_e32 v[0:1], v0
	s_branch .LBB8_538
.LBB8_537:
	s_mov_b64 s[4:5], -1
                                        ; implicit-def: $vgpr0_vgpr1
.LBB8_538:
	s_andn2_b64 vcc, exec, s[4:5]
	s_cbranch_vccnz .LBB8_540
; %bb.539:
	global_load_ubyte v0, v[2:3], off
	s_waitcnt vmcnt(0)
	v_cvt_f64_u32_e32 v[0:1], v0
.LBB8_540:
	s_branch .LBB8_296
.LBB8_541:
	s_mov_b64 s[6:7], 0
	s_mov_b64 s[4:5], s[66:67]
.LBB8_542:
                                        ; implicit-def: $vgpr45
.LBB8_543:
	s_andn2_b64 s[8:9], s[66:67], exec
	s_and_b64 s[4:5], s[4:5], exec
	s_or_b64 s[74:75], s[8:9], s[4:5]
	s_andn2_b64 s[4:5], s[68:69], exec
	s_and_b64 s[8:9], s[72:73], exec
	s_or_b64 s[72:73], s[4:5], s[8:9]
	s_orn2_b64 s[4:5], s[6:7], exec
.LBB8_544:
	s_or_b64 exec, exec, s[76:77]
	s_mov_b64 s[6:7], 0
	s_mov_b64 s[8:9], 0
	;; [unrolled: 1-line block ×3, first 2 shown]
                                        ; implicit-def: $vgpr0_vgpr1
                                        ; implicit-def: $vgpr42
                                        ; implicit-def: $vgpr2_vgpr3
	s_and_saveexec_b64 s[76:77], s[4:5]
	s_cbranch_execz .LBB8_921
; %bb.545:
	v_cmp_gt_i32_e32 vcc, s84, v45
	s_mov_b64 s[6:7], -1
	s_mov_b64 s[24:25], s[72:73]
	s_mov_b64 s[26:27], s[74:75]
	s_and_saveexec_b64 s[78:79], vcc
	s_cbranch_execz .LBB8_820
; %bb.546:
	s_andn2_b64 vcc, exec, s[54:55]
	s_cbranch_vccnz .LBB8_552
; %bb.547:
	s_mov_b32 s24, 0
	s_andn2_b64 vcc, exec, s[64:65]
	s_waitcnt vmcnt(0)
	v_mov_b32_e32 v0, 0
	v_mov_b32_e32 v42, 0
	s_cbranch_vccnz .LBB8_558
; %bb.548:
	s_add_i32 s30, s85, 1
	s_cmp_eq_u32 s83, 2
	s_cbranch_scc1 .LBB8_553
; %bb.549:
	s_and_b32 s24, s30, 28
	s_mov_b32 s25, 0
	v_mov_b32_e32 v42, 0
	s_mov_b64 s[26:27], s[38:39]
	s_mov_b64 s[28:29], s[62:63]
	v_mov_b32_e32 v1, v45
	v_mov_b32_e32 v0, 0
.LBB8_550:                              ; =>This Inner Loop Header: Depth=1
	s_load_dwordx8 s[12:19], s[26:27], 0x4
	s_load_dwordx4 s[20:23], s[26:27], 0x24
	s_load_dwordx8 s[4:11], s[28:29], 0x0
	s_add_u32 s26, s26, 48
	s_addc_u32 s27, s27, 0
	s_waitcnt lgkmcnt(0)
	v_mul_hi_u32 v2, s13, v1
	v_add_u32_e32 v2, v1, v2
	v_lshrrev_b32_e32 v2, s14, v2
	v_mul_lo_u32 v3, v2, s12
	v_mul_hi_u32 v4, s16, v2
	v_sub_u32_e32 v1, v1, v3
	v_add_u32_e32 v3, v2, v4
	v_lshrrev_b32_e32 v3, s17, v3
	v_mul_lo_u32 v5, v3, s15
	v_mul_hi_u32 v6, s19, v3
	v_sub_u32_e32 v2, v2, v5
	v_add_u32_e32 v5, v3, v6
	v_mul_lo_u32 v4, v1, s5
	v_mul_lo_u32 v1, v1, s4
	;; [unrolled: 1-line block ×4, first 2 shown]
	v_lshrrev_b32_e32 v5, s20, v5
	v_add3_u32 v2, v1, v42, v2
	v_add3_u32 v0, v4, v0, v6
	v_mul_lo_u32 v1, v5, s18
	v_mul_hi_u32 v4, s22, v5
	v_sub_u32_e32 v1, v3, v1
	v_add_u32_e32 v3, v5, v4
	v_mul_lo_u32 v4, v1, s8
	v_mul_lo_u32 v6, v1, s9
	v_lshrrev_b32_e32 v1, s23, v3
	s_add_i32 s25, s25, 4
	v_mul_lo_u32 v3, v1, s21
	s_add_u32 s28, s28, 32
	v_sub_u32_e32 v3, v5, v3
	s_addc_u32 s29, s29, 0
	v_mul_lo_u32 v5, v3, s10
	v_mul_lo_u32 v3, v3, s11
	s_cmp_eq_u32 s24, s25
	v_add3_u32 v0, v6, v0, v3
	v_add3_u32 v42, v4, v2, v5
	s_cbranch_scc0 .LBB8_550
; %bb.551:
	v_mov_b32_e32 v43, v0
	s_branch .LBB8_554
.LBB8_552:
	s_mov_b64 s[4:5], -1
                                        ; implicit-def: $vgpr0
                                        ; implicit-def: $vgpr42
	s_branch .LBB8_559
.LBB8_553:
	s_mov_b32 s25, s24
	v_pk_mov_b32 v[42:43], s[24:25], s[24:25] op_sel:[0,1]
                                        ; implicit-def: $vgpr0
	v_mov_b32_e32 v1, v45
.LBB8_554:
	s_and_b32 s8, s30, 3
	s_cmp_eq_u32 s8, 0
	s_cbranch_scc1 .LBB8_558
; %bb.555:
	s_lshl_b32 s4, s24, 3
	s_add_u32 s4, s4, s38
	s_addc_u32 s5, s39, 0
	s_add_u32 s4, s4, 0xc4
	s_addc_u32 s5, s5, 0
	s_mul_i32 s6, s24, 12
	s_add_u32 s6, s38, s6
	s_addc_u32 s7, s39, 0
.LBB8_556:                              ; =>This Inner Loop Header: Depth=1
	s_load_dwordx2 s[10:11], s[6:7], 0x4
	s_load_dword s9, s[6:7], 0xc
	s_load_dwordx2 s[12:13], s[4:5], 0x0
	s_add_u32 s6, s6, 12
	s_addc_u32 s7, s7, 0
	s_waitcnt lgkmcnt(0)
	v_mul_hi_u32 v2, s11, v1
	v_add_u32_e32 v2, v1, v2
	v_lshrrev_b32_e32 v2, s9, v2
	v_mul_lo_u32 v3, v2, s10
	v_mov_b32_e32 v0, v43
	s_add_u32 s4, s4, 8
	v_sub_u32_e32 v4, v1, v3
	v_mov_b32_e32 v1, v2
	s_addc_u32 s5, s5, 0
	s_add_i32 s8, s8, -1
	v_mad_u64_u32 v[2:3], s[10:11], v4, s13, v[0:1]
	v_mad_u64_u32 v[42:43], s[10:11], v4, s12, v[42:43]
	s_cmp_lg_u32 s8, 0
	v_mov_b32_e32 v43, v2
	s_cbranch_scc1 .LBB8_556
; %bb.557:
	v_mov_b32_e32 v0, v43
.LBB8_558:
	s_mov_b64 s[4:5], 0
.LBB8_559:
	s_andn2_b64 vcc, exec, s[4:5]
	s_cbranch_vccnz .LBB8_562
; %bb.560:
	s_waitcnt vmcnt(0) lgkmcnt(0)
	v_mul_hi_u32 v0, s49, v45
	v_add_u32_e32 v0, v45, v0
	v_lshrrev_b32_e32 v1, s50, v0
	v_mul_lo_u32 v0, v1, s48
	v_sub_u32_e32 v2, v45, v0
	v_mul_lo_u32 v0, v2, s45
	s_andn2_b64 vcc, exec, s[60:61]
	v_mul_lo_u32 v42, v2, s44
	s_cbranch_vccnz .LBB8_562
; %bb.561:
	v_mul_hi_u32 v2, s58, v1
	v_add_u32_e32 v2, v1, v2
	v_lshrrev_b32_e32 v2, s59, v2
	v_mul_lo_u32 v2, v2, s51
	v_sub_u32_e32 v1, v1, v2
	v_mad_u64_u32 v[42:43], s[4:5], v1, s46, v[42:43]
	v_mad_u64_u32 v[0:1], s[4:5], v1, s47, v[0:1]
.LBB8_562:
	s_waitcnt vmcnt(0) lgkmcnt(0)
	v_mov_b32_e32 v1, s43
	v_add_co_u32_e32 v2, vcc, s42, v0
	v_addc_co_u32_e32 v3, vcc, 0, v1, vcc
	v_cmp_gt_i16_e32 vcc, 11, v44
	s_cbranch_vccnz .LBB8_569
; %bb.563:
	v_cmp_lt_i16_e32 vcc, 25, v44
	s_cbranch_vccz .LBB8_570
; %bb.564:
	v_cmp_lt_i16_e32 vcc, 28, v44
	s_cbranch_vccz .LBB8_571
	;; [unrolled: 3-line block ×4, first 2 shown]
; %bb.567:
	v_cmp_eq_u16_e32 vcc, 46, v44
	s_mov_b64 s[6:7], 0
	s_cbranch_vccz .LBB8_578
; %bb.568:
	global_load_dword v0, v[2:3], off
	s_mov_b64 s[4:5], -1
	s_mov_b64 s[80:81], 0
	s_waitcnt vmcnt(0)
	v_lshlrev_b32_e32 v0, 16, v0
	v_cvt_f64_f32_e32 v[0:1], v0
	s_branch .LBB8_579
.LBB8_569:
	s_mov_b64 s[6:7], -1
	s_mov_b64 s[4:5], 0
                                        ; implicit-def: $vgpr0_vgpr1
	s_mov_b64 s[80:81], s[72:73]
	s_branch .LBB8_644
.LBB8_570:
	s_mov_b64 s[6:7], -1
	s_mov_b64 s[4:5], 0
	s_mov_b64 s[80:81], s[72:73]
                                        ; implicit-def: $vgpr0_vgpr1
	s_branch .LBB8_608
.LBB8_571:
	s_mov_b64 s[6:7], -1
	s_mov_b64 s[4:5], 0
	s_mov_b64 s[80:81], s[72:73]
                                        ; implicit-def: $vgpr0_vgpr1
	s_branch .LBB8_589
.LBB8_572:
	s_mov_b64 s[6:7], -1
	s_mov_b64 s[4:5], 0
	s_mov_b64 s[80:81], s[72:73]
                                        ; implicit-def: $vgpr0_vgpr1
	s_branch .LBB8_584
.LBB8_573:
	s_or_saveexec_b64 s[10:11], s[10:11]
                                        ; implicit-def: $sgpr12
	s_xor_b64 exec, exec, s[10:11]
	s_cbranch_execz .LBB8_341
.LBB8_574:
	s_mov_b32 s12, 0x46000000
	v_add_f32_e64 v3, |v2|, s12
	v_and_b32_e32 v3, 0xff, v3
	v_cmp_ne_u32_e32 vcc, 0, v3
	s_andn2_b64 s[8:9], s[8:9], exec
	s_and_b64 s[14:15], vcc, exec
	s_mov_b32 s12, 0
	s_or_b64 s[8:9], s[8:9], s[14:15]
	s_or_b64 exec, exec, s[10:11]
	v_mov_b32_e32 v6, s12
	s_and_saveexec_b64 s[10:11], s[8:9]
	s_cbranch_execnz .LBB8_342
	s_branch .LBB8_343
.LBB8_575:
	s_mov_b64 s[6:7], -1
	s_mov_b64 s[4:5], 0
	s_mov_b64 s[80:81], s[72:73]
                                        ; implicit-def: $vgpr0_vgpr1
	s_branch .LBB8_579
.LBB8_576:
	s_or_saveexec_b64 s[10:11], s[10:11]
                                        ; implicit-def: $sgpr12
	s_xor_b64 exec, exec, s[10:11]
	s_cbranch_execz .LBB8_354
.LBB8_577:
	s_mov_b32 s12, 0x42800000
	v_add_f32_e64 v3, |v2|, s12
	v_and_b32_e32 v3, 0xff, v3
	v_cmp_ne_u32_e32 vcc, 0, v3
	s_andn2_b64 s[8:9], s[8:9], exec
	s_and_b64 s[14:15], vcc, exec
	s_mov_b32 s12, 0
	s_or_b64 s[8:9], s[8:9], s[14:15]
	s_or_b64 exec, exec, s[10:11]
	v_mov_b32_e32 v6, s12
	s_and_saveexec_b64 s[10:11], s[8:9]
	s_cbranch_execnz .LBB8_355
	s_branch .LBB8_356
.LBB8_578:
	s_mov_b64 s[80:81], -1
                                        ; implicit-def: $vgpr0_vgpr1
	s_mov_b64 s[4:5], 0
.LBB8_579:
	s_and_b64 vcc, exec, s[6:7]
	s_cbranch_vccz .LBB8_583
; %bb.580:
	v_cmp_eq_u16_e32 vcc, 44, v44
	s_cbranch_vccz .LBB8_582
; %bb.581:
	global_load_ubyte v4, v[2:3], off
	s_movk_i32 s6, 0xff
	v_bfrev_b32_e32 v5, 4
	v_mov_b32_e32 v6, 0x7ff80000
	v_bfrev_b32_e32 v7, 28
	s_mov_b64 s[4:5], -1
	s_mov_b64 s[80:81], 0
	s_waitcnt vmcnt(0)
	v_lshlrev_b32_e32 v0, 23, v4
	v_cvt_f64_f32_e32 v[0:1], v0
	v_cmp_ne_u32_e32 vcc, s6, v4
	v_cndmask_b32_e32 v0, v5, v0, vcc
	v_cndmask_b32_e32 v1, v6, v1, vcc
	v_cmp_ne_u32_e32 vcc, 0, v4
	v_cndmask_b32_e32 v1, v7, v1, vcc
	v_cndmask_b32_e32 v0, 0, v0, vcc
	s_branch .LBB8_583
.LBB8_582:
	s_mov_b64 s[80:81], -1
                                        ; implicit-def: $vgpr0_vgpr1
.LBB8_583:
	s_mov_b64 s[6:7], 0
.LBB8_584:
	s_and_b64 vcc, exec, s[6:7]
	s_cbranch_vccz .LBB8_588
; %bb.585:
	v_cmp_eq_u16_e32 vcc, 29, v44
	s_cbranch_vccz .LBB8_587
; %bb.586:
	global_load_dwordx2 v[0:1], v[2:3], off
	s_mov_b64 s[4:5], -1
	s_mov_b64 s[80:81], 0
	s_mov_b64 s[6:7], 0
	s_waitcnt vmcnt(0)
	v_cvt_f64_u32_e32 v[4:5], v1
	v_cvt_f64_u32_e32 v[0:1], v0
	v_ldexp_f64 v[4:5], v[4:5], 32
	v_add_f64 v[0:1], v[4:5], v[0:1]
	s_branch .LBB8_589
.LBB8_587:
	s_mov_b64 s[80:81], -1
                                        ; implicit-def: $vgpr0_vgpr1
.LBB8_588:
	s_mov_b64 s[6:7], 0
.LBB8_589:
	s_and_b64 vcc, exec, s[6:7]
	s_cbranch_vccz .LBB8_607
; %bb.590:
	v_cmp_gt_i16_e32 vcc, 27, v44
	s_cbranch_vccnz .LBB8_593
; %bb.591:
	v_cmp_lt_i16_e32 vcc, 27, v44
	s_cbranch_vccz .LBB8_594
; %bb.592:
	global_load_dword v0, v[2:3], off
	s_mov_b64 s[4:5], 0
	s_waitcnt vmcnt(0)
	v_cvt_f64_u32_e32 v[0:1], v0
	s_branch .LBB8_595
.LBB8_593:
	s_mov_b64 s[4:5], -1
                                        ; implicit-def: $vgpr0_vgpr1
	s_branch .LBB8_598
.LBB8_594:
	s_mov_b64 s[4:5], -1
                                        ; implicit-def: $vgpr0_vgpr1
.LBB8_595:
	s_andn2_b64 vcc, exec, s[4:5]
	s_cbranch_vccnz .LBB8_597
; %bb.596:
	global_load_ushort v0, v[2:3], off
	s_waitcnt vmcnt(0)
	v_cvt_f64_u32_e32 v[0:1], v0
.LBB8_597:
	s_mov_b64 s[4:5], 0
.LBB8_598:
	s_andn2_b64 vcc, exec, s[4:5]
	s_cbranch_vccnz .LBB8_606
; %bb.599:
	global_load_ubyte v4, v[2:3], off
	s_movk_i32 s4, 0x7f
                                        ; implicit-def: $sgpr6_sgpr7
	s_waitcnt vmcnt(0)
	v_cmp_lt_i16_e32 vcc, s4, v4
	s_mov_b64 s[4:5], 0
	s_and_saveexec_b64 s[8:9], vcc
	s_xor_b64 s[8:9], exec, s[8:9]
	s_cbranch_execz .LBB8_620
; %bb.600:
	s_movk_i32 s4, 0x80
	v_cmp_eq_u16_e32 vcc, s4, v4
	s_mov_b64 s[10:11], -1
                                        ; implicit-def: $sgpr6_sgpr7
	s_and_saveexec_b64 s[4:5], vcc
; %bb.601:
	s_mov_b32 s7, 0x7ff80000
	s_brev_b32 s6, 4
	s_xor_b64 s[10:11], exec, -1
; %bb.602:
	s_or_b64 exec, exec, s[4:5]
	s_and_b64 s[4:5], s[10:11], exec
	s_or_saveexec_b64 s[8:9], s[8:9]
	v_pk_mov_b32 v[0:1], s[6:7], s[6:7] op_sel:[0,1]
	s_xor_b64 exec, exec, s[8:9]
	s_cbranch_execnz .LBB8_621
.LBB8_603:
	s_or_b64 exec, exec, s[8:9]
	s_and_saveexec_b64 s[6:7], s[4:5]
	s_cbranch_execz .LBB8_605
.LBB8_604:
	v_and_b32_e32 v1, 0xffff, v4
	v_lshlrev_b32_e32 v0, 24, v4
	v_and_b32_e32 v4, 7, v1
	v_ffbh_u32_e32 v6, v4
	v_min_u32_e32 v6, 32, v6
	v_subrev_u32_e32 v7, 28, v6
	v_bfe_u32 v5, v1, 3, 4
	v_lshlrev_b32_e32 v1, v7, v1
	v_sub_u32_e32 v6, 29, v6
	v_and_b32_e32 v1, 7, v1
	v_cmp_eq_u32_e32 vcc, 0, v5
	v_cndmask_b32_e32 v5, v5, v6, vcc
	v_cndmask_b32_e32 v1, v4, v1, vcc
	v_mov_b32_e32 v4, 0x3b800000
	v_lshlrev_b32_e32 v1, 20, v1
	v_and_b32_e32 v0, 0x80000000, v0
	v_lshl_add_u32 v4, v5, 23, v4
	v_or3_b32 v0, v0, v4, v1
	v_cvt_f64_f32_e32 v[0:1], v0
.LBB8_605:
	s_or_b64 exec, exec, s[6:7]
.LBB8_606:
	s_mov_b64 s[4:5], -1
.LBB8_607:
	s_mov_b64 s[6:7], 0
.LBB8_608:
	s_and_b64 vcc, exec, s[6:7]
	s_cbranch_vccz .LBB8_643
; %bb.609:
	v_cmp_lt_i16_e32 vcc, 22, v44
	s_cbranch_vccz .LBB8_619
; %bb.610:
	v_cmp_gt_i16_e32 vcc, 24, v44
	s_cbranch_vccnz .LBB8_622
; %bb.611:
	v_cmp_lt_i16_e32 vcc, 24, v44
	s_cbranch_vccz .LBB8_623
; %bb.612:
	global_load_ubyte v4, v[2:3], off
	s_movk_i32 s4, 0x7f
                                        ; implicit-def: $sgpr6_sgpr7
	s_waitcnt vmcnt(0)
	v_cmp_lt_i16_e32 vcc, s4, v4
	s_mov_b64 s[4:5], 0
	s_and_saveexec_b64 s[8:9], vcc
	s_xor_b64 s[8:9], exec, s[8:9]
	s_cbranch_execz .LBB8_635
; %bb.613:
	s_movk_i32 s4, 0x80
	v_cmp_eq_u16_e32 vcc, s4, v4
	s_mov_b64 s[10:11], -1
                                        ; implicit-def: $sgpr6_sgpr7
	s_and_saveexec_b64 s[4:5], vcc
; %bb.614:
	s_mov_b32 s7, 0x7ff80000
	s_brev_b32 s6, 4
	s_xor_b64 s[10:11], exec, -1
; %bb.615:
	s_or_b64 exec, exec, s[4:5]
	s_and_b64 s[4:5], s[10:11], exec
	s_or_saveexec_b64 s[8:9], s[8:9]
	v_pk_mov_b32 v[0:1], s[6:7], s[6:7] op_sel:[0,1]
	s_xor_b64 exec, exec, s[8:9]
	s_cbranch_execnz .LBB8_636
.LBB8_616:
	s_or_b64 exec, exec, s[8:9]
	s_and_saveexec_b64 s[6:7], s[4:5]
	s_cbranch_execz .LBB8_618
.LBB8_617:
	v_and_b32_e32 v1, 0xffff, v4
	v_lshlrev_b32_e32 v0, 24, v4
	v_and_b32_e32 v4, 3, v1
	v_ffbh_u32_e32 v6, v4
	v_min_u32_e32 v6, 32, v6
	v_subrev_u32_e32 v7, 29, v6
	v_bfe_u32 v5, v1, 2, 5
	v_lshlrev_b32_e32 v1, v7, v1
	v_sub_u32_e32 v6, 30, v6
	v_and_b32_e32 v1, 3, v1
	v_cmp_eq_u32_e32 vcc, 0, v5
	v_cndmask_b32_e32 v5, v5, v6, vcc
	v_cndmask_b32_e32 v1, v4, v1, vcc
	v_mov_b32_e32 v4, 0x37800000
	v_lshlrev_b32_e32 v1, 21, v1
	v_and_b32_e32 v0, 0x80000000, v0
	v_lshl_add_u32 v4, v5, 23, v4
	v_or3_b32 v0, v0, v4, v1
	v_cvt_f64_f32_e32 v[0:1], v0
.LBB8_618:
	s_or_b64 exec, exec, s[6:7]
	s_mov_b64 s[4:5], 0
	s_branch .LBB8_624
.LBB8_619:
	s_mov_b64 s[6:7], -1
                                        ; implicit-def: $vgpr0_vgpr1
	s_branch .LBB8_630
.LBB8_620:
	s_or_saveexec_b64 s[8:9], s[8:9]
	v_pk_mov_b32 v[0:1], s[6:7], s[6:7] op_sel:[0,1]
	s_xor_b64 exec, exec, s[8:9]
	s_cbranch_execz .LBB8_603
.LBB8_621:
	v_cmp_ne_u16_e32 vcc, 0, v4
	s_andn2_b64 s[4:5], s[4:5], exec
	s_and_b64 s[6:7], vcc, exec
	v_pk_mov_b32 v[0:1], 0, 0
	s_or_b64 s[4:5], s[4:5], s[6:7]
	s_or_b64 exec, exec, s[8:9]
	s_and_saveexec_b64 s[6:7], s[4:5]
	s_cbranch_execnz .LBB8_604
	s_branch .LBB8_605
.LBB8_622:
	s_mov_b64 s[4:5], -1
                                        ; implicit-def: $vgpr0_vgpr1
	s_branch .LBB8_627
.LBB8_623:
	s_mov_b64 s[4:5], -1
                                        ; implicit-def: $vgpr0_vgpr1
.LBB8_624:
	s_and_b64 vcc, exec, s[4:5]
	s_cbranch_vccz .LBB8_626
; %bb.625:
	global_load_ubyte v0, v[2:3], off
	s_mov_b32 s4, 0x7f800000
	s_waitcnt vmcnt(0)
	v_lshlrev_b32_e32 v0, 24, v0
	v_and_b32_e32 v1, 0x7f000000, v0
	v_ffbh_u32_e32 v4, v1
	v_min_u32_e32 v4, 32, v4
	v_sub_u32_e64 v4, v4, 4 clamp
	v_lshlrev_b32_e32 v6, v4, v1
	v_lshlrev_b32_e32 v4, 23, v4
	v_lshrrev_b32_e32 v6, 4, v6
	v_add_u32_e32 v5, 0x1000000, v1
	v_sub_u32_e32 v4, v6, v4
	v_ashrrev_i32_e32 v5, 8, v5
	v_add_u32_e32 v4, 0x3c000000, v4
	v_and_or_b32 v4, v5, s4, v4
	v_cmp_ne_u32_e32 vcc, 0, v1
	v_cndmask_b32_e32 v1, 0, v4, vcc
	s_brev_b32 s4, 1
	v_and_or_b32 v0, v0, s4, v1
	v_cvt_f64_f32_e32 v[0:1], v0
.LBB8_626:
	s_mov_b64 s[4:5], 0
.LBB8_627:
	s_andn2_b64 vcc, exec, s[4:5]
	s_cbranch_vccnz .LBB8_629
; %bb.628:
	global_load_ubyte v0, v[2:3], off
	s_movk_i32 s4, 0x7f00
	s_brev_b32 s5, 16
	s_waitcnt vmcnt(0)
	v_lshlrev_b16_e32 v1, 8, v0
	v_lshlrev_b32_e32 v0, 25, v0
	v_lshrrev_b32_e32 v4, 4, v0
	v_and_or_b32 v5, v1, s4, 0.5
	v_or_b32_e32 v4, 0x70000000, v4
	v_add_f32_e32 v5, -0.5, v5
	v_mul_f32_e32 v4, 0x7800000, v4
	v_cmp_gt_u32_e32 vcc, s5, v0
	v_bfe_i32 v1, v1, 0, 16
	v_cndmask_b32_e32 v0, v4, v5, vcc
	s_brev_b32 s4, 1
	v_and_or_b32 v0, v1, s4, v0
	v_cvt_f64_f32_e32 v[0:1], v0
.LBB8_629:
	s_mov_b64 s[6:7], 0
	s_mov_b64 s[4:5], -1
.LBB8_630:
	s_andn2_b64 vcc, exec, s[6:7]
	s_cbranch_vccnz .LBB8_643
; %bb.631:
	v_cmp_lt_i16_e32 vcc, 14, v44
	s_cbranch_vccz .LBB8_634
; %bb.632:
	v_cmp_eq_u16_e32 vcc, 15, v44
	s_cbranch_vccz .LBB8_637
; %bb.633:
	global_load_ushort v0, v[2:3], off
	s_mov_b64 s[4:5], -1
	s_mov_b64 s[80:81], 0
	s_waitcnt vmcnt(0)
	v_lshlrev_b32_e32 v0, 16, v0
	v_cvt_f64_f32_e32 v[0:1], v0
	s_branch .LBB8_638
.LBB8_634:
	s_mov_b64 s[6:7], -1
                                        ; implicit-def: $vgpr0_vgpr1
	s_branch .LBB8_639
.LBB8_635:
	s_or_saveexec_b64 s[8:9], s[8:9]
	v_pk_mov_b32 v[0:1], s[6:7], s[6:7] op_sel:[0,1]
	s_xor_b64 exec, exec, s[8:9]
	s_cbranch_execz .LBB8_616
.LBB8_636:
	v_cmp_ne_u16_e32 vcc, 0, v4
	s_andn2_b64 s[4:5], s[4:5], exec
	s_and_b64 s[6:7], vcc, exec
	v_pk_mov_b32 v[0:1], 0, 0
	s_or_b64 s[4:5], s[4:5], s[6:7]
	s_or_b64 exec, exec, s[8:9]
	s_and_saveexec_b64 s[6:7], s[4:5]
	s_cbranch_execnz .LBB8_617
	s_branch .LBB8_618
.LBB8_637:
	s_mov_b64 s[80:81], -1
                                        ; implicit-def: $vgpr0_vgpr1
.LBB8_638:
	s_mov_b64 s[6:7], 0
.LBB8_639:
	s_and_b64 vcc, exec, s[6:7]
	s_cbranch_vccz .LBB8_643
; %bb.640:
	v_cmp_eq_u16_e32 vcc, 11, v44
	s_cbranch_vccz .LBB8_642
; %bb.641:
	global_load_ubyte v1, v[2:3], off
	v_mov_b32_e32 v4, 0x3ff00000
	v_mov_b32_e32 v0, 0
	s_mov_b64 s[4:5], -1
	s_mov_b64 s[80:81], 0
	s_waitcnt vmcnt(0)
	v_cmp_ne_u16_e32 vcc, 0, v1
	v_cndmask_b32_e32 v1, 0, v4, vcc
	s_branch .LBB8_643
.LBB8_642:
	s_mov_b64 s[80:81], -1
                                        ; implicit-def: $vgpr0_vgpr1
.LBB8_643:
	s_mov_b64 s[6:7], 0
.LBB8_644:
	s_and_b64 vcc, exec, s[6:7]
	s_cbranch_vccz .LBB8_693
; %bb.645:
	v_cmp_gt_i16_e32 vcc, 5, v44
	s_cbranch_vccnz .LBB8_650
; %bb.646:
	v_cmp_gt_i16_e32 vcc, 8, v44
	s_cbranch_vccnz .LBB8_651
	;; [unrolled: 3-line block ×3, first 2 shown]
; %bb.648:
	v_cmp_lt_i16_e32 vcc, 9, v44
	s_cbranch_vccz .LBB8_653
; %bb.649:
	global_load_dwordx2 v[0:1], v[2:3], off
	s_mov_b64 s[4:5], 0
	s_branch .LBB8_654
.LBB8_650:
	s_mov_b64 s[4:5], -1
                                        ; implicit-def: $vgpr0_vgpr1
	s_branch .LBB8_672
.LBB8_651:
	s_mov_b64 s[4:5], -1
                                        ; implicit-def: $vgpr0_vgpr1
	s_branch .LBB8_660
.LBB8_652:
	s_mov_b64 s[4:5], -1
                                        ; implicit-def: $vgpr0_vgpr1
	s_branch .LBB8_657
.LBB8_653:
	s_mov_b64 s[4:5], -1
                                        ; implicit-def: $vgpr0_vgpr1
.LBB8_654:
	s_andn2_b64 vcc, exec, s[4:5]
	s_cbranch_vccnz .LBB8_656
; %bb.655:
	global_load_dword v0, v[2:3], off
	s_waitcnt vmcnt(0)
	v_cvt_f64_f32_e32 v[0:1], v0
.LBB8_656:
	s_mov_b64 s[4:5], 0
.LBB8_657:
	s_andn2_b64 vcc, exec, s[4:5]
	s_cbranch_vccnz .LBB8_659
; %bb.658:
	global_load_dword v0, v[2:3], off
	s_waitcnt vmcnt(0)
	v_cvt_f32_f16_e32 v0, v0
	v_cvt_f64_f32_e32 v[0:1], v0
.LBB8_659:
	s_mov_b64 s[4:5], 0
.LBB8_660:
	s_andn2_b64 vcc, exec, s[4:5]
	s_cbranch_vccnz .LBB8_671
; %bb.661:
	v_cmp_gt_i16_e32 vcc, 6, v44
	s_cbranch_vccnz .LBB8_664
; %bb.662:
	v_cmp_lt_i16_e32 vcc, 6, v44
	s_cbranch_vccz .LBB8_665
; %bb.663:
	global_load_dwordx2 v[0:1], v[2:3], off
	s_mov_b64 s[4:5], 0
	s_branch .LBB8_666
.LBB8_664:
	s_mov_b64 s[4:5], -1
                                        ; implicit-def: $vgpr0_vgpr1
	s_branch .LBB8_669
.LBB8_665:
	s_mov_b64 s[4:5], -1
                                        ; implicit-def: $vgpr0_vgpr1
.LBB8_666:
	s_andn2_b64 vcc, exec, s[4:5]
	s_cbranch_vccnz .LBB8_668
; %bb.667:
	global_load_dword v0, v[2:3], off
	s_waitcnt vmcnt(0)
	v_cvt_f64_f32_e32 v[0:1], v0
.LBB8_668:
	s_mov_b64 s[4:5], 0
.LBB8_669:
	s_andn2_b64 vcc, exec, s[4:5]
	s_cbranch_vccnz .LBB8_671
; %bb.670:
	global_load_ushort v0, v[2:3], off
	s_waitcnt vmcnt(0)
	v_cvt_f32_f16_e32 v0, v0
	v_cvt_f64_f32_e32 v[0:1], v0
.LBB8_671:
	s_mov_b64 s[4:5], 0
.LBB8_672:
	s_andn2_b64 vcc, exec, s[4:5]
	s_cbranch_vccnz .LBB8_692
; %bb.673:
	v_cmp_gt_i16_e32 vcc, 2, v44
	s_cbranch_vccnz .LBB8_677
; %bb.674:
	v_cmp_gt_i16_e32 vcc, 3, v44
	s_cbranch_vccnz .LBB8_678
; %bb.675:
	v_cmp_lt_i16_e32 vcc, 3, v44
	s_cbranch_vccz .LBB8_679
; %bb.676:
	global_load_dwordx2 v[0:1], v[2:3], off
	s_mov_b64 s[4:5], 0
	s_waitcnt vmcnt(0)
	v_cvt_f64_i32_e32 v[4:5], v1
	v_cvt_f64_u32_e32 v[0:1], v0
	v_ldexp_f64 v[4:5], v[4:5], 32
	v_add_f64 v[0:1], v[4:5], v[0:1]
	s_branch .LBB8_680
.LBB8_677:
	s_mov_b64 s[4:5], -1
                                        ; implicit-def: $vgpr0_vgpr1
	s_branch .LBB8_686
.LBB8_678:
	s_mov_b64 s[4:5], -1
                                        ; implicit-def: $vgpr0_vgpr1
	s_branch .LBB8_683
.LBB8_679:
	s_mov_b64 s[4:5], -1
                                        ; implicit-def: $vgpr0_vgpr1
.LBB8_680:
	s_andn2_b64 vcc, exec, s[4:5]
	s_cbranch_vccnz .LBB8_682
; %bb.681:
	global_load_dword v0, v[2:3], off
	s_waitcnt vmcnt(0)
	v_cvt_f64_i32_e32 v[0:1], v0
.LBB8_682:
	s_mov_b64 s[4:5], 0
.LBB8_683:
	s_andn2_b64 vcc, exec, s[4:5]
	s_cbranch_vccnz .LBB8_685
; %bb.684:
	global_load_sshort v0, v[2:3], off
	s_waitcnt vmcnt(0)
	v_cvt_f64_i32_e32 v[0:1], v0
.LBB8_685:
	s_mov_b64 s[4:5], 0
.LBB8_686:
	s_andn2_b64 vcc, exec, s[4:5]
	s_cbranch_vccnz .LBB8_692
; %bb.687:
	v_cmp_lt_i16_e32 vcc, 0, v44
	s_cbranch_vccz .LBB8_689
; %bb.688:
	global_load_sbyte v0, v[2:3], off
	s_mov_b64 s[4:5], 0
	s_waitcnt vmcnt(0)
	v_cvt_f64_i32_e32 v[0:1], v0
	s_branch .LBB8_690
.LBB8_689:
	s_mov_b64 s[4:5], -1
                                        ; implicit-def: $vgpr0_vgpr1
.LBB8_690:
	s_andn2_b64 vcc, exec, s[4:5]
	s_cbranch_vccnz .LBB8_692
; %bb.691:
	global_load_ubyte v0, v[2:3], off
	s_waitcnt vmcnt(0)
	v_cvt_f64_u32_e32 v[0:1], v0
.LBB8_692:
	s_mov_b64 s[4:5], -1
.LBB8_693:
	s_andn2_b64 vcc, exec, s[4:5]
	s_cbranch_vccnz .LBB8_701
; %bb.694:
	s_getpc_b64 s[4:5]
	s_add_u32 s4, s4, _Z17bessel_j1_forwardIdET_S0_@rel32@lo+4
	s_addc_u32 s5, s5, _Z17bessel_j1_forwardIdET_S0_@rel32@hi+12
	s_swappc_b64 s[30:31], s[4:5]
	v_mov_b32_e32 v2, s41
	v_add_co_u32_e32 v4, vcc, s40, v42
	v_addc_co_u32_e32 v5, vcc, 0, v2, vcc
	v_mov_b32_e32 v2, 11
	v_cmp_lt_i16_sdwa s[4:5], v41, v2 src0_sel:BYTE_0 src1_sel:DWORD
	s_and_b64 vcc, exec, s[4:5]
	s_cbranch_vccnz .LBB8_702
; %bb.695:
	v_mov_b32_e32 v2, 25
	v_cmp_gt_i16_sdwa s[4:5], v41, v2 src0_sel:BYTE_0 src1_sel:DWORD
	s_and_b64 vcc, exec, s[4:5]
	s_cbranch_vccz .LBB8_703
; %bb.696:
	v_mov_b32_e32 v2, 28
	v_cmp_gt_i16_sdwa s[4:5], v41, v2 src0_sel:BYTE_0 src1_sel:DWORD
	s_and_b64 vcc, exec, s[4:5]
	s_cbranch_vccz .LBB8_704
	;; [unrolled: 5-line block ×4, first 2 shown]
; %bb.699:
	v_mov_b32_e32 v2, 46
	v_cmp_eq_u16_sdwa s[6:7], v41, v2 src0_sel:BYTE_0 src1_sel:DWORD
	s_mov_b64 s[8:9], 0
	s_mov_b64 s[4:5], -1
	s_and_b64 vcc, exec, s[6:7]
	s_mov_b64 s[6:7], 0
	s_cbranch_vccz .LBB8_707
; %bb.700:
	v_cvt_f32_f64_e32 v2, v[0:1]
	v_bfe_u32 v3, v2, 16, 1
	s_movk_i32 s4, 0x7fff
	v_add3_u32 v3, v2, v3, s4
	v_lshrrev_b32_e32 v3, 16, v3
	v_mov_b32_e32 v6, 0x7fc0
	v_cmp_o_f32_e32 vcc, v2, v2
	v_cndmask_b32_e32 v2, v6, v3, vcc
	global_store_dword v[4:5], v2, off
	s_mov_b64 s[6:7], -1
	s_mov_b64 s[4:5], 0
	s_branch .LBB8_707
.LBB8_701:
	s_mov_b64 s[6:7], 0
	s_mov_b64 s[4:5], s[74:75]
	s_branch .LBB8_818
.LBB8_702:
	s_mov_b64 s[8:9], -1
	s_mov_b64 s[6:7], 0
	s_mov_b64 s[4:5], s[74:75]
	s_branch .LBB8_776
.LBB8_703:
	s_mov_b64 s[8:9], -1
	s_mov_b64 s[6:7], 0
	s_mov_b64 s[4:5], s[74:75]
	s_branch .LBB8_734
.LBB8_704:
	s_mov_b64 s[8:9], -1
	s_mov_b64 s[6:7], 0
	s_mov_b64 s[4:5], s[74:75]
	s_branch .LBB8_717
.LBB8_705:
	s_mov_b64 s[8:9], -1
	s_mov_b64 s[6:7], 0
	s_mov_b64 s[4:5], s[74:75]
	s_branch .LBB8_713
.LBB8_706:
	s_mov_b64 s[8:9], -1
	s_mov_b64 s[6:7], 0
	s_mov_b64 s[4:5], s[74:75]
.LBB8_707:
	s_and_b64 vcc, exec, s[8:9]
	s_cbranch_vccz .LBB8_712
; %bb.708:
	v_mov_b32_e32 v2, 44
	v_cmp_eq_u16_sdwa s[8:9], v41, v2 src0_sel:BYTE_0 src1_sel:DWORD
	s_mov_b64 s[4:5], -1
	s_and_b64 vcc, exec, s[8:9]
	s_cbranch_vccz .LBB8_712
; %bb.709:
	v_cvt_f32_f64_e32 v2, v[0:1]
	v_bfe_u32 v3, v2, 23, 8
	s_movk_i32 s4, 0xff
	v_cmp_ne_u32_e32 vcc, s4, v3
	v_mov_b32_e32 v6, 0xff
	s_and_saveexec_b64 s[6:7], vcc
; %bb.710:
	s_mov_b32 s4, 0x3fffff
	v_lshrrev_b32_e32 v6, 23, v2
	v_and_b32_e32 v7, 0x400000, v2
	v_and_or_b32 v2, v2, s4, v3
	v_cmp_ne_u32_e32 vcc, 0, v7
	v_cmp_ne_u32_e64 s[4:5], 0, v2
	s_and_b64 s[4:5], vcc, s[4:5]
	v_cndmask_b32_e64 v2, 0, 1, s[4:5]
	v_add_u32_e32 v6, v6, v2
; %bb.711:
	s_or_b64 exec, exec, s[6:7]
	s_mov_b64 s[6:7], -1
	s_mov_b64 s[4:5], 0
	global_store_byte v[4:5], v6, off
.LBB8_712:
	s_mov_b64 s[8:9], 0
.LBB8_713:
	s_and_b64 vcc, exec, s[8:9]
	s_cbranch_vccz .LBB8_716
; %bb.714:
	v_mov_b32_e32 v2, 29
	v_cmp_eq_u16_sdwa s[8:9], v41, v2 src0_sel:BYTE_0 src1_sel:DWORD
	s_mov_b64 s[4:5], -1
	s_and_b64 vcc, exec, s[8:9]
	s_cbranch_vccz .LBB8_716
; %bb.715:
	v_trunc_f64_e32 v[2:3], v[0:1]
	s_movk_i32 s4, 0xffe0
	v_ldexp_f64 v[6:7], v[2:3], s4
	v_floor_f64_e32 v[6:7], v[6:7]
	v_fmac_f64_e32 v[2:3], 0xc1f00000, v[6:7]
	v_cvt_u32_f64_e32 v9, v[6:7]
	v_cvt_u32_f64_e32 v8, v[2:3]
	global_store_dwordx2 v[4:5], v[8:9], off
	s_mov_b64 s[6:7], -1
	s_mov_b64 s[4:5], 0
.LBB8_716:
	s_mov_b64 s[8:9], 0
.LBB8_717:
	s_and_b64 vcc, exec, s[8:9]
	s_cbranch_vccz .LBB8_733
; %bb.718:
	v_mov_b32_e32 v2, 27
	v_cmp_lt_i16_sdwa s[8:9], v41, v2 src0_sel:BYTE_0 src1_sel:DWORD
	s_mov_b64 s[6:7], -1
	s_and_b64 vcc, exec, s[8:9]
	s_cbranch_vccnz .LBB8_724
; %bb.719:
	v_cmp_gt_i16_sdwa s[8:9], v41, v2 src0_sel:BYTE_0 src1_sel:DWORD
	s_and_b64 vcc, exec, s[8:9]
	v_cvt_u32_f64_e32 v2, v[0:1]
	s_cbranch_vccz .LBB8_721
; %bb.720:
	s_mov_b64 s[6:7], 0
	global_store_dword v[4:5], v2, off
.LBB8_721:
	s_andn2_b64 vcc, exec, s[6:7]
	s_cbranch_vccnz .LBB8_723
; %bb.722:
	global_store_short v[4:5], v2, off
.LBB8_723:
	s_mov_b64 s[6:7], 0
.LBB8_724:
	s_andn2_b64 vcc, exec, s[6:7]
	s_cbranch_vccnz .LBB8_732
; %bb.725:
	v_cvt_f32_f64_e32 v2, v[0:1]
	v_and_b32_e32 v3, 0x7fffffff, v2
	s_mov_b32 s6, 0x43800000
	v_cmp_gt_u32_e32 vcc, s6, v3
	v_mov_b32_e32 v6, 0x80
	s_and_saveexec_b64 s[6:7], vcc
	s_cbranch_execz .LBB8_731
; %bb.726:
	s_mov_b32 s8, 0x3bffffff
	v_cmp_lt_u32_e32 vcc, s8, v3
	s_mov_b64 s[8:9], 0
                                        ; implicit-def: $vgpr3
	s_and_saveexec_b64 s[10:11], vcc
	s_xor_b64 s[10:11], exec, s[10:11]
	s_cbranch_execz .LBB8_849
; %bb.727:
	v_bfe_u32 v3, v2, 20, 1
	s_mov_b32 s12, 0x487ffff
	v_add3_u32 v3, v2, v3, s12
	s_mov_b64 s[8:9], exec
	v_lshrrev_b32_e32 v3, 20, v3
	s_or_saveexec_b64 s[10:11], s[10:11]
                                        ; implicit-def: $sgpr12
	s_xor_b64 exec, exec, s[10:11]
	s_cbranch_execnz .LBB8_850
.LBB8_728:
	s_or_b64 exec, exec, s[10:11]
	v_mov_b32_e32 v6, s12
	s_and_saveexec_b64 s[10:11], s[8:9]
.LBB8_729:
	v_lshrrev_b32_e32 v2, 24, v2
	s_movk_i32 s8, 0x80
	v_and_or_b32 v6, v2, s8, v3
.LBB8_730:
	s_or_b64 exec, exec, s[10:11]
.LBB8_731:
	s_or_b64 exec, exec, s[6:7]
	global_store_byte v[4:5], v6, off
.LBB8_732:
	s_mov_b64 s[6:7], -1
.LBB8_733:
	s_mov_b64 s[8:9], 0
.LBB8_734:
	s_and_b64 vcc, exec, s[8:9]
	s_cbranch_vccz .LBB8_775
; %bb.735:
	v_mov_b32_e32 v2, 22
	v_cmp_gt_i16_sdwa s[10:11], v41, v2 src0_sel:BYTE_0 src1_sel:DWORD
	s_mov_b64 s[8:9], -1
	s_and_b64 vcc, exec, s[10:11]
	s_cbranch_vccz .LBB8_767
; %bb.736:
	v_mov_b32_e32 v2, 24
	v_cmp_lt_i16_sdwa s[8:9], v41, v2 src0_sel:BYTE_0 src1_sel:DWORD
	s_mov_b64 s[6:7], -1
	s_and_b64 vcc, exec, s[8:9]
	s_cbranch_vccnz .LBB8_756
; %bb.737:
	v_cmp_gt_i16_sdwa s[8:9], v41, v2 src0_sel:BYTE_0 src1_sel:DWORD
	s_and_b64 vcc, exec, s[8:9]
	s_cbranch_vccz .LBB8_745
; %bb.738:
	v_cvt_f32_f64_e32 v2, v[0:1]
	v_and_b32_e32 v3, 0x7fffffff, v2
	s_mov_b32 s6, 0x47800000
	v_cmp_gt_u32_e32 vcc, s6, v3
	v_mov_b32_e32 v6, 0x80
	s_and_saveexec_b64 s[6:7], vcc
	s_cbranch_execz .LBB8_744
; %bb.739:
	s_mov_b32 s8, 0x37ffffff
	v_cmp_lt_u32_e32 vcc, s8, v3
	s_mov_b64 s[8:9], 0
                                        ; implicit-def: $vgpr3
	s_and_saveexec_b64 s[10:11], vcc
	s_xor_b64 s[10:11], exec, s[10:11]
	s_cbranch_execz .LBB8_852
; %bb.740:
	v_bfe_u32 v3, v2, 21, 1
	s_mov_b32 s12, 0x88fffff
	v_add3_u32 v3, v2, v3, s12
	s_mov_b64 s[8:9], exec
	v_lshrrev_b32_e32 v3, 21, v3
	s_or_saveexec_b64 s[10:11], s[10:11]
                                        ; implicit-def: $sgpr12
	s_xor_b64 exec, exec, s[10:11]
	s_cbranch_execnz .LBB8_853
.LBB8_741:
	s_or_b64 exec, exec, s[10:11]
	v_mov_b32_e32 v6, s12
	s_and_saveexec_b64 s[10:11], s[8:9]
.LBB8_742:
	v_lshrrev_b32_e32 v2, 24, v2
	s_movk_i32 s8, 0x80
	v_and_or_b32 v6, v2, s8, v3
.LBB8_743:
	s_or_b64 exec, exec, s[10:11]
.LBB8_744:
	s_or_b64 exec, exec, s[6:7]
	s_mov_b64 s[6:7], 0
	global_store_byte v[4:5], v6, off
.LBB8_745:
	s_and_b64 vcc, exec, s[6:7]
	s_cbranch_vccz .LBB8_755
; %bb.746:
	v_cvt_f32_f64_e32 v2, v[0:1]
	v_and_b32_e32 v6, 0x7fffffff, v2
	s_mov_b32 s6, 0x43f00000
	v_cmp_gt_u32_e32 vcc, s6, v6
                                        ; implicit-def: $vgpr3
	s_and_saveexec_b64 s[6:7], vcc
	s_xor_b64 s[6:7], exec, s[6:7]
	s_cbranch_execz .LBB8_752
; %bb.747:
	s_mov_b32 s8, 0x3c7fffff
	v_cmp_lt_u32_e32 vcc, s8, v6
                                        ; implicit-def: $vgpr3
	s_and_saveexec_b64 s[8:9], vcc
	s_xor_b64 s[8:9], exec, s[8:9]
; %bb.748:
	v_bfe_u32 v3, v2, 20, 1
	s_mov_b32 s10, 0x407ffff
	v_add3_u32 v3, v2, v3, s10
	v_lshrrev_b32_e32 v6, 20, v3
	v_and_b32_e32 v3, 0xff00000, v3
	s_mov_b32 s10, 0x7f00000
	v_mov_b32_e32 v7, 0x7e
	v_cmp_ne_u32_e32 vcc, s10, v3
	v_cndmask_b32_e32 v3, v7, v6, vcc
; %bb.749:
	s_andn2_saveexec_b64 s[8:9], s[8:9]
; %bb.750:
	s_mov_b32 s10, 0x46800000
	v_add_f32_e64 v3, |v2|, s10
; %bb.751:
	s_or_b64 exec, exec, s[8:9]
                                        ; implicit-def: $vgpr6
.LBB8_752:
	s_andn2_saveexec_b64 s[6:7], s[6:7]
; %bb.753:
	s_mov_b32 s8, 0x7f800000
	v_mov_b32_e32 v3, 0x7e
	v_mov_b32_e32 v7, 0x7f
	v_cmp_lt_u32_e32 vcc, s8, v6
	v_cndmask_b32_e32 v3, v3, v7, vcc
; %bb.754:
	s_or_b64 exec, exec, s[6:7]
	v_lshrrev_b32_e32 v2, 24, v2
	s_movk_i32 s6, 0x80
	v_and_or_b32 v2, v2, s6, v3
	global_store_byte v[4:5], v2, off
.LBB8_755:
	s_mov_b64 s[6:7], 0
.LBB8_756:
	s_andn2_b64 vcc, exec, s[6:7]
	s_cbranch_vccnz .LBB8_766
; %bb.757:
	v_cvt_f32_f64_e32 v2, v[0:1]
	v_and_b32_e32 v6, 0x7fffffff, v2
	s_mov_b32 s6, 0x47800000
	v_cmp_gt_u32_e32 vcc, s6, v6
                                        ; implicit-def: $vgpr3
	s_and_saveexec_b64 s[6:7], vcc
	s_xor_b64 s[6:7], exec, s[6:7]
	s_cbranch_execz .LBB8_763
; %bb.758:
	s_mov_b32 s8, 0x387fffff
	v_cmp_lt_u32_e32 vcc, s8, v6
                                        ; implicit-def: $vgpr3
	s_and_saveexec_b64 s[8:9], vcc
	s_xor_b64 s[8:9], exec, s[8:9]
; %bb.759:
	v_bfe_u32 v3, v2, 21, 1
	s_mov_b32 s10, 0x80fffff
	v_add3_u32 v3, v2, v3, s10
	v_lshrrev_b32_e32 v3, 21, v3
; %bb.760:
	s_andn2_saveexec_b64 s[8:9], s[8:9]
; %bb.761:
	s_mov_b32 s10, 0x43000000
	v_add_f32_e64 v3, |v2|, s10
; %bb.762:
	s_or_b64 exec, exec, s[8:9]
                                        ; implicit-def: $vgpr6
.LBB8_763:
	s_andn2_saveexec_b64 s[6:7], s[6:7]
; %bb.764:
	s_mov_b32 s8, 0x7f800000
	v_mov_b32_e32 v3, 0x7c
	v_mov_b32_e32 v7, 0x7f
	v_cmp_lt_u32_e32 vcc, s8, v6
	v_cndmask_b32_e32 v3, v3, v7, vcc
; %bb.765:
	s_or_b64 exec, exec, s[6:7]
	v_lshrrev_b32_e32 v2, 24, v2
	s_movk_i32 s6, 0x80
	v_and_or_b32 v2, v2, s6, v3
	global_store_byte v[4:5], v2, off
.LBB8_766:
	s_mov_b64 s[8:9], 0
	s_mov_b64 s[6:7], -1
.LBB8_767:
	s_andn2_b64 vcc, exec, s[8:9]
	s_cbranch_vccnz .LBB8_775
; %bb.768:
	v_mov_b32_e32 v2, 14
	v_cmp_gt_i16_sdwa s[10:11], v41, v2 src0_sel:BYTE_0 src1_sel:DWORD
	s_mov_b64 s[8:9], -1
	s_and_b64 vcc, exec, s[10:11]
	s_cbranch_vccz .LBB8_772
; %bb.769:
	v_mov_b32_e32 v2, 15
	v_cmp_eq_u16_sdwa s[8:9], v41, v2 src0_sel:BYTE_0 src1_sel:DWORD
	s_mov_b64 s[4:5], -1
	s_and_b64 vcc, exec, s[8:9]
	s_cbranch_vccz .LBB8_771
; %bb.770:
	v_cvt_f32_f64_e32 v2, v[0:1]
	v_bfe_u32 v3, v2, 16, 1
	s_movk_i32 s4, 0x7fff
	v_add3_u32 v3, v2, v3, s4
	v_lshrrev_b32_e32 v3, 16, v3
	v_mov_b32_e32 v6, 0x7fc0
	v_cmp_o_f32_e32 vcc, v2, v2
	v_cndmask_b32_e32 v2, v6, v3, vcc
	global_store_short v[4:5], v2, off
	s_mov_b64 s[6:7], -1
	s_mov_b64 s[4:5], 0
.LBB8_771:
	s_mov_b64 s[8:9], 0
.LBB8_772:
	s_and_b64 vcc, exec, s[8:9]
	s_cbranch_vccz .LBB8_775
; %bb.773:
	v_mov_b32_e32 v2, 11
	v_cmp_eq_u16_sdwa s[8:9], v41, v2 src0_sel:BYTE_0 src1_sel:DWORD
	s_mov_b64 s[4:5], -1
	s_and_b64 vcc, exec, s[8:9]
	s_cbranch_vccz .LBB8_775
; %bb.774:
	v_cmp_neq_f64_e32 vcc, 0, v[0:1]
	s_mov_b64 s[4:5], 0
	v_cndmask_b32_e64 v2, 0, 1, vcc
	s_mov_b64 s[6:7], -1
	global_store_byte v[4:5], v2, off
.LBB8_775:
	s_mov_b64 s[8:9], 0
.LBB8_776:
	s_and_b64 vcc, exec, s[8:9]
	s_cbranch_vccz .LBB8_815
; %bb.777:
	v_mov_b32_e32 v2, 5
	v_cmp_lt_i16_sdwa s[8:9], v41, v2 src0_sel:BYTE_0 src1_sel:DWORD
	s_mov_b64 s[6:7], -1
	s_and_b64 vcc, exec, s[8:9]
	s_cbranch_vccnz .LBB8_798
; %bb.778:
	v_mov_b32_e32 v2, 8
	v_cmp_lt_i16_sdwa s[8:9], v41, v2 src0_sel:BYTE_0 src1_sel:DWORD
	s_and_b64 vcc, exec, s[8:9]
	s_cbranch_vccnz .LBB8_788
; %bb.779:
	v_mov_b32_e32 v2, 9
	v_cmp_lt_i16_sdwa s[8:9], v41, v2 src0_sel:BYTE_0 src1_sel:DWORD
	s_and_b64 vcc, exec, s[8:9]
	s_cbranch_vccnz .LBB8_785
; %bb.780:
	v_cmp_gt_i16_sdwa s[8:9], v41, v2 src0_sel:BYTE_0 src1_sel:DWORD
	s_and_b64 vcc, exec, s[8:9]
	s_cbranch_vccz .LBB8_782
; %bb.781:
	v_mov_b32_e32 v2, 0
	v_mov_b32_e32 v3, v2
	s_mov_b64 s[6:7], 0
	global_store_dwordx4 v[4:5], v[0:3], off
.LBB8_782:
	s_andn2_b64 vcc, exec, s[6:7]
	s_cbranch_vccnz .LBB8_784
; %bb.783:
	v_cvt_f32_f64_e32 v2, v[0:1]
	v_mov_b32_e32 v3, 0
	global_store_dwordx2 v[4:5], v[2:3], off
.LBB8_784:
	s_mov_b64 s[6:7], 0
.LBB8_785:
	s_andn2_b64 vcc, exec, s[6:7]
	s_cbranch_vccnz .LBB8_787
; %bb.786:
	v_cvt_f32_f64_e32 v2, v[0:1]
	v_cvt_f16_f32_e32 v2, v2
	global_store_dword v[4:5], v2, off
.LBB8_787:
	s_mov_b64 s[6:7], 0
.LBB8_788:
	s_andn2_b64 vcc, exec, s[6:7]
	s_cbranch_vccnz .LBB8_797
; %bb.789:
	v_mov_b32_e32 v2, 6
	v_cmp_lt_i16_sdwa s[8:9], v41, v2 src0_sel:BYTE_0 src1_sel:DWORD
	s_mov_b64 s[6:7], -1
	s_and_b64 vcc, exec, s[8:9]
	s_cbranch_vccnz .LBB8_795
; %bb.790:
	v_cmp_gt_i16_sdwa s[8:9], v41, v2 src0_sel:BYTE_0 src1_sel:DWORD
	s_and_b64 vcc, exec, s[8:9]
	s_cbranch_vccz .LBB8_792
; %bb.791:
	s_mov_b64 s[6:7], 0
	global_store_dwordx2 v[4:5], v[0:1], off
.LBB8_792:
	s_andn2_b64 vcc, exec, s[6:7]
	s_cbranch_vccnz .LBB8_794
; %bb.793:
	v_cvt_f32_f64_e32 v2, v[0:1]
	global_store_dword v[4:5], v2, off
.LBB8_794:
	s_mov_b64 s[6:7], 0
.LBB8_795:
	s_andn2_b64 vcc, exec, s[6:7]
	s_cbranch_vccnz .LBB8_797
; %bb.796:
	v_cvt_f32_f64_e32 v2, v[0:1]
	v_cvt_f16_f32_e32 v2, v2
	global_store_short v[4:5], v2, off
.LBB8_797:
	s_mov_b64 s[6:7], 0
.LBB8_798:
	s_andn2_b64 vcc, exec, s[6:7]
	s_cbranch_vccnz .LBB8_814
; %bb.799:
	v_mov_b32_e32 v2, 2
	v_cmp_lt_i16_sdwa s[8:9], v41, v2 src0_sel:BYTE_0 src1_sel:DWORD
	s_mov_b64 s[6:7], -1
	s_and_b64 vcc, exec, s[8:9]
	s_cbranch_vccnz .LBB8_809
; %bb.800:
	v_mov_b32_e32 v2, 3
	v_cmp_lt_i16_sdwa s[8:9], v41, v2 src0_sel:BYTE_0 src1_sel:DWORD
	s_and_b64 vcc, exec, s[8:9]
	s_cbranch_vccnz .LBB8_806
; %bb.801:
	v_cmp_gt_i16_sdwa s[8:9], v41, v2 src0_sel:BYTE_0 src1_sel:DWORD
	s_and_b64 vcc, exec, s[8:9]
	s_cbranch_vccz .LBB8_803
; %bb.802:
	v_trunc_f64_e32 v[2:3], v[0:1]
	s_movk_i32 s6, 0xffe0
	v_ldexp_f64 v[6:7], v[2:3], s6
	v_floor_f64_e32 v[6:7], v[6:7]
	v_fmac_f64_e32 v[2:3], 0xc1f00000, v[6:7]
	v_cvt_i32_f64_e32 v9, v[6:7]
	v_cvt_u32_f64_e32 v8, v[2:3]
	s_mov_b64 s[6:7], 0
	global_store_dwordx2 v[4:5], v[8:9], off
.LBB8_803:
	s_andn2_b64 vcc, exec, s[6:7]
	s_cbranch_vccnz .LBB8_805
; %bb.804:
	v_cvt_i32_f64_e32 v2, v[0:1]
	global_store_dword v[4:5], v2, off
.LBB8_805:
	s_mov_b64 s[6:7], 0
.LBB8_806:
	s_andn2_b64 vcc, exec, s[6:7]
	s_cbranch_vccnz .LBB8_808
; %bb.807:
	v_cvt_i32_f64_e32 v2, v[0:1]
	global_store_short v[4:5], v2, off
.LBB8_808:
	s_mov_b64 s[6:7], 0
.LBB8_809:
	s_andn2_b64 vcc, exec, s[6:7]
	s_cbranch_vccnz .LBB8_814
; %bb.810:
	v_mov_b32_e32 v2, 0
	v_cmp_gt_i16_sdwa s[8:9], v41, v2 src0_sel:BYTE_0 src1_sel:DWORD
	s_mov_b64 s[6:7], -1
	s_and_b64 vcc, exec, s[8:9]
	s_cbranch_vccz .LBB8_812
; %bb.811:
	v_cvt_i32_f64_e32 v2, v[0:1]
	s_mov_b64 s[6:7], 0
	global_store_byte v[4:5], v2, off
.LBB8_812:
	s_andn2_b64 vcc, exec, s[6:7]
	s_cbranch_vccnz .LBB8_814
; %bb.813:
	v_trunc_f64_e32 v[0:1], v[0:1]
	s_movk_i32 s6, 0xffe0
	v_ldexp_f64 v[2:3], v[0:1], s6
	v_floor_f64_e32 v[2:3], v[2:3]
	v_fmac_f64_e32 v[0:1], 0xc1f00000, v[2:3]
	v_cvt_u32_f64_e32 v0, v[0:1]
	global_store_byte v[4:5], v0, off
.LBB8_814:
	s_mov_b64 s[6:7], -1
.LBB8_815:
	s_andn2_b64 vcc, exec, s[6:7]
	s_cbranch_vccnz .LBB8_817
; %bb.816:
	v_add_u32_e32 v45, 0x80, v45
	s_mov_b64 s[6:7], -1
	s_branch .LBB8_819
.LBB8_817:
	s_mov_b64 s[6:7], 0
.LBB8_818:
                                        ; implicit-def: $vgpr45
.LBB8_819:
	s_andn2_b64 s[8:9], s[74:75], exec
	s_and_b64 s[4:5], s[4:5], exec
	s_or_b64 s[26:27], s[8:9], s[4:5]
	s_andn2_b64 s[4:5], s[72:73], exec
	s_and_b64 s[8:9], s[80:81], exec
	s_or_b64 s[24:25], s[4:5], s[8:9]
	s_orn2_b64 s[6:7], s[6:7], exec
.LBB8_820:
	s_or_b64 exec, exec, s[78:79]
	s_mov_b64 s[4:5], 0
	s_mov_b64 s[8:9], 0
	;; [unrolled: 1-line block ×3, first 2 shown]
                                        ; implicit-def: $vgpr0_vgpr1
                                        ; implicit-def: $vgpr42
                                        ; implicit-def: $vgpr2_vgpr3
	s_and_saveexec_b64 s[28:29], s[6:7]
	s_cbranch_execz .LBB8_920
; %bb.821:
	v_cmp_gt_i32_e32 vcc, s84, v45
	s_mov_b64 s[6:7], 0
	s_mov_b64 s[12:13], s[24:25]
                                        ; implicit-def: $vgpr0_vgpr1
                                        ; implicit-def: $vgpr42
                                        ; implicit-def: $vgpr2_vgpr3
	s_and_saveexec_b64 s[30:31], vcc
	s_cbranch_execz .LBB8_919
; %bb.822:
	s_andn2_b64 vcc, exec, s[54:55]
	s_cbranch_vccnz .LBB8_828
; %bb.823:
	s_mov_b32 s34, 0
	s_andn2_b64 vcc, exec, s[64:65]
	s_waitcnt vmcnt(0)
	v_mov_b32_e32 v0, 0
	v_mov_b32_e32 v42, 0
	s_cbranch_vccnz .LBB8_834
; %bb.824:
	s_add_i32 s85, s85, 1
	s_cmp_eq_u32 s83, 2
	s_cbranch_scc1 .LBB8_829
; %bb.825:
	s_and_b32 s34, s85, 28
	s_mov_b32 s33, 0
	v_mov_b32_e32 v42, 0
	s_mov_b64 s[64:65], s[38:39]
	v_mov_b32_e32 v1, v45
	v_mov_b32_e32 v0, 0
.LBB8_826:                              ; =>This Inner Loop Header: Depth=1
	s_load_dwordx8 s[12:19], s[64:65], 0x4
	s_load_dwordx4 s[20:23], s[64:65], 0x24
	s_load_dwordx8 s[4:11], s[62:63], 0x0
	s_add_u32 s64, s64, 48
	s_addc_u32 s65, s65, 0
	s_waitcnt lgkmcnt(0)
	v_mul_hi_u32 v2, s13, v1
	v_add_u32_e32 v2, v1, v2
	v_lshrrev_b32_e32 v2, s14, v2
	v_mul_lo_u32 v3, v2, s12
	v_mul_hi_u32 v4, s16, v2
	v_sub_u32_e32 v1, v1, v3
	v_add_u32_e32 v3, v2, v4
	v_lshrrev_b32_e32 v3, s17, v3
	v_mul_lo_u32 v5, v3, s15
	v_mul_hi_u32 v6, s19, v3
	v_sub_u32_e32 v2, v2, v5
	v_add_u32_e32 v5, v3, v6
	v_mul_lo_u32 v4, v1, s5
	v_mul_lo_u32 v1, v1, s4
	;; [unrolled: 1-line block ×4, first 2 shown]
	v_lshrrev_b32_e32 v5, s20, v5
	v_add3_u32 v2, v1, v42, v2
	v_add3_u32 v0, v4, v0, v6
	v_mul_lo_u32 v1, v5, s18
	v_mul_hi_u32 v4, s22, v5
	v_sub_u32_e32 v1, v3, v1
	v_add_u32_e32 v3, v5, v4
	v_mul_lo_u32 v4, v1, s8
	v_mul_lo_u32 v6, v1, s9
	v_lshrrev_b32_e32 v1, s23, v3
	s_add_i32 s33, s33, 4
	v_mul_lo_u32 v3, v1, s21
	s_add_u32 s62, s62, 32
	v_sub_u32_e32 v3, v5, v3
	s_addc_u32 s63, s63, 0
	v_mul_lo_u32 v5, v3, s10
	v_mul_lo_u32 v3, v3, s11
	s_cmp_eq_u32 s34, s33
	v_add3_u32 v0, v6, v0, v3
	v_add3_u32 v42, v4, v2, v5
	s_cbranch_scc0 .LBB8_826
; %bb.827:
	v_mov_b32_e32 v43, v0
	s_branch .LBB8_830
.LBB8_828:
	s_mov_b64 s[4:5], -1
                                        ; implicit-def: $vgpr0
                                        ; implicit-def: $vgpr42
	s_branch .LBB8_835
.LBB8_829:
	s_mov_b32 s35, s34
	v_pk_mov_b32 v[42:43], s[34:35], s[34:35] op_sel:[0,1]
                                        ; implicit-def: $vgpr0
	v_mov_b32_e32 v1, v45
.LBB8_830:
	s_and_b32 s8, s85, 3
	s_cmp_eq_u32 s8, 0
	s_cbranch_scc1 .LBB8_834
; %bb.831:
	s_lshl_b32 s4, s34, 3
	s_add_u32 s4, s4, s38
	s_addc_u32 s5, s39, 0
	s_add_u32 s4, s4, 0xc4
	s_addc_u32 s5, s5, 0
	s_mul_i32 s6, s34, 12
	s_add_u32 s6, s38, s6
	s_addc_u32 s7, s39, 0
.LBB8_832:                              ; =>This Inner Loop Header: Depth=1
	s_load_dwordx2 s[10:11], s[6:7], 0x4
	s_load_dword s9, s[6:7], 0xc
	s_load_dwordx2 s[12:13], s[4:5], 0x0
	s_add_u32 s6, s6, 12
	s_addc_u32 s7, s7, 0
	s_waitcnt lgkmcnt(0)
	v_mul_hi_u32 v2, s11, v1
	v_add_u32_e32 v2, v1, v2
	v_lshrrev_b32_e32 v2, s9, v2
	v_mul_lo_u32 v3, v2, s10
	v_mov_b32_e32 v0, v43
	s_add_u32 s4, s4, 8
	v_sub_u32_e32 v4, v1, v3
	v_mov_b32_e32 v1, v2
	s_addc_u32 s5, s5, 0
	s_add_i32 s8, s8, -1
	v_mad_u64_u32 v[2:3], s[10:11], v4, s13, v[0:1]
	v_mad_u64_u32 v[42:43], s[10:11], v4, s12, v[42:43]
	s_cmp_lg_u32 s8, 0
	v_mov_b32_e32 v43, v2
	s_cbranch_scc1 .LBB8_832
; %bb.833:
	v_mov_b32_e32 v0, v43
.LBB8_834:
	s_mov_b64 s[4:5], 0
.LBB8_835:
	s_andn2_b64 vcc, exec, s[4:5]
	s_cbranch_vccnz .LBB8_838
; %bb.836:
	s_waitcnt vmcnt(0) lgkmcnt(0)
	v_mul_hi_u32 v0, s49, v45
	v_add_u32_e32 v0, v45, v0
	v_lshrrev_b32_e32 v1, s50, v0
	v_mul_lo_u32 v0, v1, s48
	v_sub_u32_e32 v2, v45, v0
	v_mul_lo_u32 v0, v2, s45
	s_andn2_b64 vcc, exec, s[60:61]
	v_mul_lo_u32 v42, v2, s44
	s_cbranch_vccnz .LBB8_838
; %bb.837:
	v_mul_hi_u32 v2, s58, v1
	v_add_u32_e32 v2, v1, v2
	v_lshrrev_b32_e32 v2, s59, v2
	v_mul_lo_u32 v2, v2, s51
	v_sub_u32_e32 v1, v1, v2
	v_mad_u64_u32 v[42:43], s[4:5], v1, s46, v[42:43]
	v_mad_u64_u32 v[0:1], s[4:5], v1, s47, v[0:1]
.LBB8_838:
	s_waitcnt vmcnt(0) lgkmcnt(0)
	v_mov_b32_e32 v1, s43
	v_add_co_u32_e32 v0, vcc, s42, v0
	v_addc_co_u32_e32 v1, vcc, 0, v1, vcc
	v_cmp_gt_i16_e32 vcc, 11, v44
	s_cbranch_vccnz .LBB8_845
; %bb.839:
	v_cmp_lt_i16_e32 vcc, 25, v44
	s_mov_b64 s[6:7], 0
	s_cbranch_vccz .LBB8_846
; %bb.840:
	v_cmp_lt_i16_e32 vcc, 28, v44
	s_cbranch_vccz .LBB8_847
; %bb.841:
	v_cmp_lt_i16_e32 vcc, 43, v44
	s_cbranch_vccz .LBB8_848
; %bb.842:
	v_cmp_lt_i16_e32 vcc, 45, v44
	s_cbranch_vccz .LBB8_851
; %bb.843:
	v_cmp_eq_u16_e32 vcc, 46, v44
	s_mov_b64 s[10:11], 0
	s_cbranch_vccz .LBB8_854
; %bb.844:
	global_load_dword v2, v[0:1], off
	s_mov_b64 s[4:5], 0
	s_mov_b64 s[8:9], -1
	s_waitcnt vmcnt(0)
	v_lshlrev_b32_e32 v2, 16, v2
	v_cvt_f64_f32_e32 v[2:3], v2
	s_branch .LBB8_855
.LBB8_845:
	s_mov_b64 s[12:13], -1
	s_mov_b64 s[8:9], 0
	s_mov_b64 s[6:7], 0
	;; [unrolled: 1-line block ×3, first 2 shown]
                                        ; implicit-def: $vgpr2_vgpr3
	s_branch .LBB8_918
.LBB8_846:
	s_mov_b64 s[10:11], -1
	s_mov_b64 s[8:9], 0
	s_mov_b64 s[4:5], s[24:25]
                                        ; implicit-def: $vgpr2_vgpr3
	s_branch .LBB8_884
.LBB8_847:
	s_mov_b64 s[10:11], -1
	s_mov_b64 s[8:9], 0
	s_mov_b64 s[4:5], s[24:25]
                                        ; implicit-def: $vgpr2_vgpr3
	s_branch .LBB8_865
.LBB8_848:
	s_mov_b64 s[10:11], -1
	s_mov_b64 s[8:9], 0
	s_mov_b64 s[4:5], s[24:25]
                                        ; implicit-def: $vgpr2_vgpr3
	s_branch .LBB8_860
.LBB8_849:
	s_or_saveexec_b64 s[10:11], s[10:11]
                                        ; implicit-def: $sgpr12
	s_xor_b64 exec, exec, s[10:11]
	s_cbranch_execz .LBB8_728
.LBB8_850:
	s_mov_b32 s12, 0x46000000
	v_add_f32_e64 v3, |v2|, s12
	v_and_b32_e32 v3, 0xff, v3
	v_cmp_ne_u32_e32 vcc, 0, v3
	s_andn2_b64 s[8:9], s[8:9], exec
	s_and_b64 s[14:15], vcc, exec
	s_mov_b32 s12, 0
	s_or_b64 s[8:9], s[8:9], s[14:15]
	s_or_b64 exec, exec, s[10:11]
	v_mov_b32_e32 v6, s12
	s_and_saveexec_b64 s[10:11], s[8:9]
	s_cbranch_execnz .LBB8_729
	s_branch .LBB8_730
.LBB8_851:
	s_mov_b64 s[10:11], -1
	s_mov_b64 s[8:9], 0
	s_mov_b64 s[4:5], s[24:25]
                                        ; implicit-def: $vgpr2_vgpr3
	s_branch .LBB8_855
.LBB8_852:
	s_or_saveexec_b64 s[10:11], s[10:11]
                                        ; implicit-def: $sgpr12
	s_xor_b64 exec, exec, s[10:11]
	s_cbranch_execz .LBB8_741
.LBB8_853:
	s_mov_b32 s12, 0x42800000
	v_add_f32_e64 v3, |v2|, s12
	v_and_b32_e32 v3, 0xff, v3
	v_cmp_ne_u32_e32 vcc, 0, v3
	s_andn2_b64 s[8:9], s[8:9], exec
	s_and_b64 s[14:15], vcc, exec
	s_mov_b32 s12, 0
	s_or_b64 s[8:9], s[8:9], s[14:15]
	s_or_b64 exec, exec, s[10:11]
	v_mov_b32_e32 v6, s12
	s_and_saveexec_b64 s[10:11], s[8:9]
	s_cbranch_execnz .LBB8_742
	s_branch .LBB8_743
.LBB8_854:
	s_mov_b64 s[4:5], -1
                                        ; implicit-def: $vgpr2_vgpr3
	s_mov_b64 s[8:9], 0
.LBB8_855:
	s_and_b64 vcc, exec, s[10:11]
	s_cbranch_vccz .LBB8_859
; %bb.856:
	v_cmp_eq_u16_e32 vcc, 44, v44
	s_cbranch_vccz .LBB8_858
; %bb.857:
	global_load_ubyte v4, v[0:1], off
	s_movk_i32 s8, 0xff
	v_bfrev_b32_e32 v5, 4
	v_mov_b32_e32 v6, 0x7ff80000
	v_bfrev_b32_e32 v7, 28
	s_mov_b64 s[4:5], 0
	s_waitcnt vmcnt(0)
	v_lshlrev_b32_e32 v2, 23, v4
	v_cvt_f64_f32_e32 v[2:3], v2
	v_cmp_ne_u32_e32 vcc, s8, v4
	v_cndmask_b32_e32 v2, v5, v2, vcc
	v_cndmask_b32_e32 v3, v6, v3, vcc
	v_cmp_ne_u32_e32 vcc, 0, v4
	v_cndmask_b32_e32 v3, v7, v3, vcc
	v_cndmask_b32_e32 v2, 0, v2, vcc
	s_mov_b64 s[8:9], -1
	s_branch .LBB8_859
.LBB8_858:
	s_mov_b64 s[4:5], -1
                                        ; implicit-def: $vgpr2_vgpr3
.LBB8_859:
	s_mov_b64 s[10:11], 0
.LBB8_860:
	s_and_b64 vcc, exec, s[10:11]
	s_cbranch_vccz .LBB8_864
; %bb.861:
	v_cmp_eq_u16_e32 vcc, 29, v44
	s_cbranch_vccz .LBB8_863
; %bb.862:
	global_load_dwordx2 v[2:3], v[0:1], off
	s_mov_b64 s[4:5], 0
	s_mov_b64 s[8:9], -1
	s_mov_b64 s[10:11], 0
	s_waitcnt vmcnt(0)
	v_cvt_f64_u32_e32 v[4:5], v3
	v_cvt_f64_u32_e32 v[2:3], v2
	v_ldexp_f64 v[4:5], v[4:5], 32
	v_add_f64 v[2:3], v[4:5], v[2:3]
	s_branch .LBB8_865
.LBB8_863:
	s_mov_b64 s[4:5], -1
                                        ; implicit-def: $vgpr2_vgpr3
.LBB8_864:
	s_mov_b64 s[10:11], 0
.LBB8_865:
	s_and_b64 vcc, exec, s[10:11]
	s_cbranch_vccz .LBB8_883
; %bb.866:
	v_cmp_gt_i16_e32 vcc, 27, v44
	s_cbranch_vccnz .LBB8_869
; %bb.867:
	v_cmp_lt_i16_e32 vcc, 27, v44
	s_cbranch_vccz .LBB8_870
; %bb.868:
	global_load_dword v2, v[0:1], off
	s_mov_b64 s[8:9], 0
	s_waitcnt vmcnt(0)
	v_cvt_f64_u32_e32 v[2:3], v2
	s_branch .LBB8_871
.LBB8_869:
	s_mov_b64 s[8:9], -1
                                        ; implicit-def: $vgpr2_vgpr3
	s_branch .LBB8_874
.LBB8_870:
	s_mov_b64 s[8:9], -1
                                        ; implicit-def: $vgpr2_vgpr3
.LBB8_871:
	s_andn2_b64 vcc, exec, s[8:9]
	s_cbranch_vccnz .LBB8_873
; %bb.872:
	global_load_ushort v2, v[0:1], off
	s_waitcnt vmcnt(0)
	v_cvt_f64_u32_e32 v[2:3], v2
.LBB8_873:
	s_mov_b64 s[8:9], 0
.LBB8_874:
	s_andn2_b64 vcc, exec, s[8:9]
	s_cbranch_vccnz .LBB8_882
; %bb.875:
	global_load_ubyte v4, v[0:1], off
	s_movk_i32 s8, 0x7f
                                        ; implicit-def: $sgpr10_sgpr11
	s_waitcnt vmcnt(0)
	v_cmp_lt_i16_e32 vcc, s8, v4
	s_mov_b64 s[8:9], 0
	s_and_saveexec_b64 s[12:13], vcc
	s_xor_b64 s[12:13], exec, s[12:13]
	s_cbranch_execz .LBB8_896
; %bb.876:
	s_movk_i32 s8, 0x80
	v_cmp_eq_u16_e32 vcc, s8, v4
	s_mov_b64 s[14:15], -1
                                        ; implicit-def: $sgpr10_sgpr11
	s_and_saveexec_b64 s[8:9], vcc
; %bb.877:
	s_mov_b32 s11, 0x7ff80000
	s_brev_b32 s10, 4
	s_xor_b64 s[14:15], exec, -1
; %bb.878:
	s_or_b64 exec, exec, s[8:9]
	s_and_b64 s[8:9], s[14:15], exec
	s_or_saveexec_b64 s[12:13], s[12:13]
	v_pk_mov_b32 v[2:3], s[10:11], s[10:11] op_sel:[0,1]
	s_xor_b64 exec, exec, s[12:13]
	s_cbranch_execnz .LBB8_897
.LBB8_879:
	s_or_b64 exec, exec, s[12:13]
	s_and_saveexec_b64 s[10:11], s[8:9]
	s_cbranch_execz .LBB8_881
.LBB8_880:
	v_and_b32_e32 v3, 0xffff, v4
	v_lshlrev_b32_e32 v2, 24, v4
	v_and_b32_e32 v4, 7, v3
	v_ffbh_u32_e32 v6, v4
	v_min_u32_e32 v6, 32, v6
	v_subrev_u32_e32 v7, 28, v6
	v_bfe_u32 v5, v3, 3, 4
	v_lshlrev_b32_e32 v3, v7, v3
	v_sub_u32_e32 v6, 29, v6
	v_and_b32_e32 v3, 7, v3
	v_cmp_eq_u32_e32 vcc, 0, v5
	v_cndmask_b32_e32 v5, v5, v6, vcc
	v_cndmask_b32_e32 v3, v4, v3, vcc
	v_mov_b32_e32 v4, 0x3b800000
	v_lshlrev_b32_e32 v3, 20, v3
	v_and_b32_e32 v2, 0x80000000, v2
	v_lshl_add_u32 v4, v5, 23, v4
	v_or3_b32 v2, v2, v4, v3
	v_cvt_f64_f32_e32 v[2:3], v2
.LBB8_881:
	s_or_b64 exec, exec, s[10:11]
.LBB8_882:
	s_mov_b64 s[8:9], -1
.LBB8_883:
	s_mov_b64 s[10:11], 0
.LBB8_884:
	s_and_b64 vcc, exec, s[10:11]
	s_cbranch_vccz .LBB8_917
; %bb.885:
	v_cmp_lt_i16_e32 vcc, 22, v44
	s_cbranch_vccz .LBB8_895
; %bb.886:
	v_cmp_gt_i16_e32 vcc, 24, v44
	s_cbranch_vccnz .LBB8_898
; %bb.887:
	v_cmp_lt_i16_e32 vcc, 24, v44
	s_cbranch_vccz .LBB8_899
; %bb.888:
	global_load_ubyte v4, v[0:1], off
	s_movk_i32 s6, 0x7f
                                        ; implicit-def: $sgpr8_sgpr9
	s_waitcnt vmcnt(0)
	v_cmp_lt_i16_e32 vcc, s6, v4
	s_mov_b64 s[6:7], 0
	s_and_saveexec_b64 s[10:11], vcc
	s_xor_b64 s[10:11], exec, s[10:11]
	s_cbranch_execz .LBB8_911
; %bb.889:
	s_movk_i32 s6, 0x80
	v_cmp_eq_u16_e32 vcc, s6, v4
	s_mov_b64 s[12:13], -1
                                        ; implicit-def: $sgpr8_sgpr9
	s_and_saveexec_b64 s[6:7], vcc
; %bb.890:
	s_mov_b32 s9, 0x7ff80000
	s_brev_b32 s8, 4
	s_xor_b64 s[12:13], exec, -1
; %bb.891:
	s_or_b64 exec, exec, s[6:7]
	s_and_b64 s[6:7], s[12:13], exec
	s_or_saveexec_b64 s[10:11], s[10:11]
	v_pk_mov_b32 v[2:3], s[8:9], s[8:9] op_sel:[0,1]
	s_xor_b64 exec, exec, s[10:11]
	s_cbranch_execnz .LBB8_912
.LBB8_892:
	s_or_b64 exec, exec, s[10:11]
	s_and_saveexec_b64 s[8:9], s[6:7]
	s_cbranch_execz .LBB8_894
.LBB8_893:
	v_and_b32_e32 v3, 0xffff, v4
	v_lshlrev_b32_e32 v2, 24, v4
	v_and_b32_e32 v4, 3, v3
	v_ffbh_u32_e32 v6, v4
	v_min_u32_e32 v6, 32, v6
	v_subrev_u32_e32 v7, 29, v6
	v_bfe_u32 v5, v3, 2, 5
	v_lshlrev_b32_e32 v3, v7, v3
	v_sub_u32_e32 v6, 30, v6
	v_and_b32_e32 v3, 3, v3
	v_cmp_eq_u32_e32 vcc, 0, v5
	v_cndmask_b32_e32 v5, v5, v6, vcc
	v_cndmask_b32_e32 v3, v4, v3, vcc
	v_mov_b32_e32 v4, 0x37800000
	v_lshlrev_b32_e32 v3, 21, v3
	v_and_b32_e32 v2, 0x80000000, v2
	v_lshl_add_u32 v4, v5, 23, v4
	v_or3_b32 v2, v2, v4, v3
	v_cvt_f64_f32_e32 v[2:3], v2
.LBB8_894:
	s_or_b64 exec, exec, s[8:9]
	s_mov_b64 s[6:7], 0
	s_branch .LBB8_900
.LBB8_895:
	s_mov_b64 s[6:7], -1
                                        ; implicit-def: $vgpr2_vgpr3
	s_branch .LBB8_906
.LBB8_896:
	s_or_saveexec_b64 s[12:13], s[12:13]
	v_pk_mov_b32 v[2:3], s[10:11], s[10:11] op_sel:[0,1]
	s_xor_b64 exec, exec, s[12:13]
	s_cbranch_execz .LBB8_879
.LBB8_897:
	v_cmp_ne_u16_e32 vcc, 0, v4
	s_andn2_b64 s[8:9], s[8:9], exec
	s_and_b64 s[10:11], vcc, exec
	v_pk_mov_b32 v[2:3], 0, 0
	s_or_b64 s[8:9], s[8:9], s[10:11]
	s_or_b64 exec, exec, s[12:13]
	s_and_saveexec_b64 s[10:11], s[8:9]
	s_cbranch_execnz .LBB8_880
	s_branch .LBB8_881
.LBB8_898:
	s_mov_b64 s[6:7], -1
                                        ; implicit-def: $vgpr2_vgpr3
	s_branch .LBB8_903
.LBB8_899:
	s_mov_b64 s[6:7], -1
                                        ; implicit-def: $vgpr2_vgpr3
.LBB8_900:
	s_and_b64 vcc, exec, s[6:7]
	s_cbranch_vccz .LBB8_902
; %bb.901:
	global_load_ubyte v2, v[0:1], off
	s_mov_b32 s6, 0x7f800000
	s_waitcnt vmcnt(0)
	v_lshlrev_b32_e32 v2, 24, v2
	v_and_b32_e32 v3, 0x7f000000, v2
	v_ffbh_u32_e32 v4, v3
	v_min_u32_e32 v4, 32, v4
	v_sub_u32_e64 v4, v4, 4 clamp
	v_lshlrev_b32_e32 v6, v4, v3
	v_lshlrev_b32_e32 v4, 23, v4
	v_lshrrev_b32_e32 v6, 4, v6
	v_add_u32_e32 v5, 0x1000000, v3
	v_sub_u32_e32 v4, v6, v4
	v_ashrrev_i32_e32 v5, 8, v5
	v_add_u32_e32 v4, 0x3c000000, v4
	v_and_or_b32 v4, v5, s6, v4
	v_cmp_ne_u32_e32 vcc, 0, v3
	v_cndmask_b32_e32 v3, 0, v4, vcc
	s_brev_b32 s6, 1
	v_and_or_b32 v2, v2, s6, v3
	v_cvt_f64_f32_e32 v[2:3], v2
.LBB8_902:
	s_mov_b64 s[6:7], 0
.LBB8_903:
	s_andn2_b64 vcc, exec, s[6:7]
	s_cbranch_vccnz .LBB8_905
; %bb.904:
	global_load_ubyte v2, v[0:1], off
	s_movk_i32 s6, 0x7f00
	s_brev_b32 s7, 16
	s_waitcnt vmcnt(0)
	v_lshlrev_b16_e32 v3, 8, v2
	v_lshlrev_b32_e32 v2, 25, v2
	v_lshrrev_b32_e32 v4, 4, v2
	v_and_or_b32 v5, v3, s6, 0.5
	v_or_b32_e32 v4, 0x70000000, v4
	v_add_f32_e32 v5, -0.5, v5
	v_mul_f32_e32 v4, 0x7800000, v4
	v_cmp_gt_u32_e32 vcc, s7, v2
	v_bfe_i32 v3, v3, 0, 16
	v_cndmask_b32_e32 v2, v4, v5, vcc
	s_brev_b32 s6, 1
	v_and_or_b32 v2, v3, s6, v2
	v_cvt_f64_f32_e32 v[2:3], v2
.LBB8_905:
	s_mov_b64 s[6:7], 0
	s_mov_b64 s[8:9], -1
.LBB8_906:
	s_andn2_b64 vcc, exec, s[6:7]
	s_mov_b64 s[6:7], 0
	s_cbranch_vccnz .LBB8_917
; %bb.907:
	v_cmp_lt_i16_e32 vcc, 14, v44
	s_cbranch_vccz .LBB8_910
; %bb.908:
	v_cmp_eq_u16_e32 vcc, 15, v44
	s_cbranch_vccz .LBB8_913
; %bb.909:
	global_load_ushort v2, v[0:1], off
	s_mov_b64 s[4:5], 0
	s_mov_b64 s[8:9], -1
	s_waitcnt vmcnt(0)
	v_lshlrev_b32_e32 v2, 16, v2
	v_cvt_f64_f32_e32 v[2:3], v2
	s_branch .LBB8_914
.LBB8_910:
	s_mov_b64 s[10:11], -1
                                        ; implicit-def: $vgpr2_vgpr3
	s_branch .LBB8_915
.LBB8_911:
	s_or_saveexec_b64 s[10:11], s[10:11]
	v_pk_mov_b32 v[2:3], s[8:9], s[8:9] op_sel:[0,1]
	s_xor_b64 exec, exec, s[10:11]
	s_cbranch_execz .LBB8_892
.LBB8_912:
	v_cmp_ne_u16_e32 vcc, 0, v4
	s_andn2_b64 s[6:7], s[6:7], exec
	s_and_b64 s[8:9], vcc, exec
	v_pk_mov_b32 v[2:3], 0, 0
	s_or_b64 s[6:7], s[6:7], s[8:9]
	s_or_b64 exec, exec, s[10:11]
	s_and_saveexec_b64 s[8:9], s[6:7]
	s_cbranch_execnz .LBB8_893
	s_branch .LBB8_894
.LBB8_913:
	s_mov_b64 s[4:5], -1
                                        ; implicit-def: $vgpr2_vgpr3
.LBB8_914:
	s_mov_b64 s[10:11], 0
.LBB8_915:
	s_and_b64 vcc, exec, s[10:11]
	s_cbranch_vccz .LBB8_917
; %bb.916:
	v_cmp_ne_u16_e32 vcc, 11, v44
	s_andn2_b64 s[4:5], s[4:5], exec
	s_and_b64 s[10:11], vcc, exec
	s_mov_b64 s[6:7], -1
	s_or_b64 s[4:5], s[4:5], s[10:11]
                                        ; implicit-def: $vgpr2_vgpr3
.LBB8_917:
	s_mov_b64 s[12:13], 0
.LBB8_918:
	s_and_b64 s[10:11], s[8:9], exec
	s_and_b64 s[8:9], s[12:13], exec
	s_andn2_b64 s[12:13], s[24:25], exec
	s_and_b64 s[4:5], s[4:5], exec
	s_and_b64 s[6:7], s[6:7], exec
	s_or_b64 s[12:13], s[12:13], s[4:5]
.LBB8_919:
	s_or_b64 exec, exec, s[30:31]
	s_and_b64 s[4:5], s[6:7], exec
	s_andn2_b64 s[6:7], s[24:25], exec
	s_and_b64 s[12:13], s[12:13], exec
	s_and_b64 s[10:11], s[10:11], exec
	;; [unrolled: 1-line block ×3, first 2 shown]
	s_or_b64 s[24:25], s[6:7], s[12:13]
.LBB8_920:
	s_or_b64 exec, exec, s[28:29]
	s_andn2_b64 s[6:7], s[74:75], exec
	s_and_b64 s[12:13], s[26:27], exec
	s_or_b64 s[74:75], s[6:7], s[12:13]
	s_and_b64 s[6:7], s[4:5], exec
	s_andn2_b64 s[4:5], s[72:73], exec
	s_and_b64 s[12:13], s[24:25], exec
	s_and_b64 s[10:11], s[10:11], exec
	;; [unrolled: 1-line block ×3, first 2 shown]
	s_or_b64 s[72:73], s[4:5], s[12:13]
.LBB8_921:
	s_or_b64 exec, exec, s[76:77]
	s_andn2_b64 s[4:5], s[66:67], exec
	s_and_b64 s[12:13], s[74:75], exec
	s_or_b64 s[66:67], s[4:5], s[12:13]
	s_and_b64 s[4:5], s[10:11], exec
	s_and_b64 s[74:75], s[6:7], exec
	s_andn2_b64 s[6:7], s[68:69], exec
	s_and_b64 s[10:11], s[72:73], exec
	s_and_b64 s[8:9], s[8:9], exec
	s_or_b64 s[68:69], s[6:7], s[10:11]
	s_or_b64 exec, exec, s[70:71]
	s_waitcnt lgkmcnt(0)
	s_mov_b64 s[42:43], 0
	s_and_saveexec_b64 s[6:7], s[68:69]
	s_cbranch_execz .LBB8_276
.LBB8_922:
	s_mov_b64 s[42:43], exec
	s_andn2_b64 s[74:75], s[74:75], exec
	s_trap 2
                                        ; implicit-def: $vgpr2_vgpr3
	s_or_b64 exec, exec, s[6:7]
	s_and_saveexec_b64 s[6:7], s[74:75]
	s_xor_b64 s[6:7], exec, s[6:7]
	s_cbranch_execnz .LBB8_277
.LBB8_923:
	s_or_b64 exec, exec, s[6:7]
	s_and_saveexec_b64 s[6:7], s[8:9]
	s_cbranch_execz .LBB8_969
.LBB8_924:
	v_cmp_gt_i16_e32 vcc, 5, v44
	s_cbranch_vccnz .LBB8_929
; %bb.925:
	v_cmp_gt_i16_e32 vcc, 8, v44
	s_cbranch_vccnz .LBB8_930
; %bb.926:
	;; [unrolled: 3-line block ×3, first 2 shown]
	v_cmp_lt_i16_e32 vcc, 9, v44
	s_cbranch_vccz .LBB8_932
; %bb.928:
	s_waitcnt vmcnt(0)
	global_load_dwordx2 v[2:3], v[0:1], off
	s_mov_b64 s[8:9], 0
	s_branch .LBB8_933
.LBB8_929:
                                        ; implicit-def: $vgpr2_vgpr3
	s_branch .LBB8_950
.LBB8_930:
                                        ; implicit-def: $vgpr2_vgpr3
	s_branch .LBB8_939
.LBB8_931:
	s_mov_b64 s[8:9], -1
                                        ; implicit-def: $vgpr2_vgpr3
	s_branch .LBB8_936
.LBB8_932:
	s_mov_b64 s[8:9], -1
                                        ; implicit-def: $vgpr2_vgpr3
.LBB8_933:
	s_andn2_b64 vcc, exec, s[8:9]
	s_cbranch_vccnz .LBB8_935
; %bb.934:
	s_waitcnt vmcnt(0)
	global_load_dword v2, v[0:1], off
	s_waitcnt vmcnt(0)
	v_cvt_f64_f32_e32 v[2:3], v2
.LBB8_935:
	s_mov_b64 s[8:9], 0
.LBB8_936:
	s_andn2_b64 vcc, exec, s[8:9]
	s_cbranch_vccnz .LBB8_938
; %bb.937:
	s_waitcnt vmcnt(0)
	global_load_dword v2, v[0:1], off
	s_waitcnt vmcnt(0)
	v_cvt_f32_f16_e32 v2, v2
	v_cvt_f64_f32_e32 v[2:3], v2
.LBB8_938:
	s_cbranch_execnz .LBB8_949
.LBB8_939:
	v_cmp_gt_i16_e32 vcc, 6, v44
	s_cbranch_vccnz .LBB8_942
; %bb.940:
	v_cmp_lt_i16_e32 vcc, 6, v44
	s_cbranch_vccz .LBB8_943
; %bb.941:
	s_waitcnt vmcnt(0)
	global_load_dwordx2 v[2:3], v[0:1], off
	s_mov_b64 s[8:9], 0
	s_branch .LBB8_944
.LBB8_942:
	s_mov_b64 s[8:9], -1
                                        ; implicit-def: $vgpr2_vgpr3
	s_branch .LBB8_947
.LBB8_943:
	s_mov_b64 s[8:9], -1
                                        ; implicit-def: $vgpr2_vgpr3
.LBB8_944:
	s_andn2_b64 vcc, exec, s[8:9]
	s_cbranch_vccnz .LBB8_946
; %bb.945:
	s_waitcnt vmcnt(0)
	global_load_dword v2, v[0:1], off
	s_waitcnt vmcnt(0)
	v_cvt_f64_f32_e32 v[2:3], v2
.LBB8_946:
	s_mov_b64 s[8:9], 0
.LBB8_947:
	s_andn2_b64 vcc, exec, s[8:9]
	s_cbranch_vccnz .LBB8_949
; %bb.948:
	s_waitcnt vmcnt(0)
	global_load_ushort v2, v[0:1], off
	s_waitcnt vmcnt(0)
	v_cvt_f32_f16_e32 v2, v2
	v_cvt_f64_f32_e32 v[2:3], v2
.LBB8_949:
	s_cbranch_execnz .LBB8_968
.LBB8_950:
	v_cmp_gt_i16_e32 vcc, 2, v44
	s_cbranch_vccnz .LBB8_954
; %bb.951:
	v_cmp_gt_i16_e32 vcc, 3, v44
	s_cbranch_vccnz .LBB8_955
; %bb.952:
	v_cmp_lt_i16_e32 vcc, 3, v44
	s_cbranch_vccz .LBB8_956
; %bb.953:
	s_waitcnt vmcnt(0)
	global_load_dwordx2 v[2:3], v[0:1], off
	s_mov_b64 s[8:9], 0
	s_waitcnt vmcnt(0)
	v_cvt_f64_i32_e32 v[4:5], v3
	v_cvt_f64_u32_e32 v[2:3], v2
	v_ldexp_f64 v[4:5], v[4:5], 32
	v_add_f64 v[2:3], v[4:5], v[2:3]
	s_branch .LBB8_957
.LBB8_954:
                                        ; implicit-def: $vgpr2_vgpr3
	s_branch .LBB8_963
.LBB8_955:
	s_mov_b64 s[8:9], -1
                                        ; implicit-def: $vgpr2_vgpr3
	s_branch .LBB8_960
.LBB8_956:
	s_mov_b64 s[8:9], -1
                                        ; implicit-def: $vgpr2_vgpr3
.LBB8_957:
	s_andn2_b64 vcc, exec, s[8:9]
	s_cbranch_vccnz .LBB8_959
; %bb.958:
	s_waitcnt vmcnt(0)
	global_load_dword v2, v[0:1], off
	s_waitcnt vmcnt(0)
	v_cvt_f64_i32_e32 v[2:3], v2
.LBB8_959:
	s_mov_b64 s[8:9], 0
.LBB8_960:
	s_andn2_b64 vcc, exec, s[8:9]
	s_cbranch_vccnz .LBB8_962
; %bb.961:
	s_waitcnt vmcnt(0)
	global_load_sshort v2, v[0:1], off
	s_waitcnt vmcnt(0)
	v_cvt_f64_i32_e32 v[2:3], v2
.LBB8_962:
	s_cbranch_execnz .LBB8_968
.LBB8_963:
	v_cmp_lt_i16_e32 vcc, 0, v44
	s_cbranch_vccz .LBB8_965
; %bb.964:
	s_waitcnt vmcnt(0)
	global_load_sbyte v2, v[0:1], off
	s_mov_b64 s[8:9], 0
	s_waitcnt vmcnt(0)
	v_cvt_f64_i32_e32 v[2:3], v2
	s_branch .LBB8_966
.LBB8_965:
	s_mov_b64 s[8:9], -1
                                        ; implicit-def: $vgpr2_vgpr3
.LBB8_966:
	s_andn2_b64 vcc, exec, s[8:9]
	s_cbranch_vccnz .LBB8_968
; %bb.967:
	s_waitcnt vmcnt(0)
	global_load_ubyte v0, v[0:1], off
	s_waitcnt vmcnt(0)
	v_cvt_f64_u32_e32 v[2:3], v0
.LBB8_968:
	s_or_b64 s[4:5], s[4:5], exec
.LBB8_969:
	s_or_b64 exec, exec, s[6:7]
	s_mov_b64 s[8:9], 0
	s_mov_b64 s[6:7], 0
                                        ; implicit-def: $vgpr6
                                        ; implicit-def: $vgpr4_vgpr5
                                        ; implicit-def: $vgpr0_vgpr1
	s_and_saveexec_b64 s[44:45], s[4:5]
	s_cbranch_execz .LBB8_1044
; %bb.970:
	s_waitcnt vmcnt(0)
	v_mov_b32_e32 v0, v2
	v_mov_b32_e32 v1, v3
	s_getpc_b64 s[4:5]
	s_add_u32 s4, s4, _Z17bessel_j1_forwardIdET_S0_@rel32@lo+4
	s_addc_u32 s5, s5, _Z17bessel_j1_forwardIdET_S0_@rel32@hi+12
	s_swappc_b64 s[30:31], s[4:5]
	v_mov_b32_e32 v2, s41
	v_add_co_u32_e32 v4, vcc, s40, v42
	v_addc_co_u32_e32 v5, vcc, 0, v2, vcc
	v_and_b32_e32 v6, 0xff, v41
	v_cmp_gt_i16_e32 vcc, 11, v6
	s_cbranch_vccnz .LBB8_1047
; %bb.971:
	v_cmp_lt_i16_e32 vcc, 25, v6
	s_mov_b64 s[8:9], -1
	s_mov_b64 s[4:5], s[66:67]
	s_cbranch_vccz .LBB8_1004
; %bb.972:
	v_cmp_lt_i16_e32 vcc, 28, v6
	s_mov_b64 s[6:7], -1
	s_mov_b64 s[4:5], s[66:67]
	s_cbranch_vccz .LBB8_988
; %bb.973:
	v_cmp_lt_i16_e32 vcc, 43, v6
	s_mov_b64 s[4:5], s[66:67]
	s_cbranch_vccz .LBB8_984
; %bb.974:
	v_cmp_lt_i16_e32 vcc, 45, v6
	s_mov_b64 s[4:5], s[66:67]
	s_cbranch_vccz .LBB8_978
; %bb.975:
	v_cmp_eq_u16_e32 vcc, 46, v6
	s_mov_b64 s[4:5], -1
	s_cbranch_vccz .LBB8_977
; %bb.976:
	v_cvt_f32_f64_e32 v2, v[0:1]
	v_bfe_u32 v3, v2, 16, 1
	s_movk_i32 s4, 0x7fff
	v_add3_u32 v3, v2, v3, s4
	v_lshrrev_b32_e32 v3, 16, v3
	v_mov_b32_e32 v7, 0x7fc0
	v_cmp_o_f32_e32 vcc, v2, v2
	v_cndmask_b32_e32 v2, v7, v3, vcc
	global_store_dword v[4:5], v2, off
	s_mov_b64 s[4:5], 0
.LBB8_977:
	s_mov_b64 s[6:7], 0
.LBB8_978:
	s_and_b64 vcc, exec, s[6:7]
	s_cbranch_vccz .LBB8_983
; %bb.979:
	v_cmp_eq_u16_e32 vcc, 44, v6
	s_mov_b64 s[4:5], -1
	s_cbranch_vccz .LBB8_983
; %bb.980:
	v_cvt_f32_f64_e32 v2, v[0:1]
	v_bfe_u32 v3, v2, 23, 8
	s_movk_i32 s4, 0xff
	v_cmp_ne_u32_e32 vcc, s4, v3
	v_mov_b32_e32 v7, 0xff
	s_and_saveexec_b64 s[6:7], vcc
; %bb.981:
	s_mov_b32 s4, 0x3fffff
	v_lshrrev_b32_e32 v7, 23, v2
	v_and_b32_e32 v8, 0x400000, v2
	v_and_or_b32 v2, v2, s4, v3
	v_cmp_ne_u32_e32 vcc, 0, v8
	v_cmp_ne_u32_e64 s[4:5], 0, v2
	s_and_b64 s[4:5], vcc, s[4:5]
	v_cndmask_b32_e64 v2, 0, 1, s[4:5]
	v_add_u32_e32 v7, v7, v2
; %bb.982:
	s_or_b64 exec, exec, s[6:7]
	s_mov_b64 s[4:5], 0
	global_store_byte v[4:5], v7, off
.LBB8_983:
	s_mov_b64 s[6:7], 0
.LBB8_984:
	s_and_b64 vcc, exec, s[6:7]
	s_cbranch_vccz .LBB8_987
; %bb.985:
	v_cmp_eq_u16_e32 vcc, 29, v6
	s_mov_b64 s[4:5], -1
	s_cbranch_vccz .LBB8_987
; %bb.986:
	v_trunc_f64_e32 v[2:3], v[0:1]
	s_movk_i32 s4, 0xffe0
	v_ldexp_f64 v[8:9], v[2:3], s4
	v_floor_f64_e32 v[8:9], v[8:9]
	v_fmac_f64_e32 v[2:3], 0xc1f00000, v[8:9]
	v_cvt_u32_f64_e32 v11, v[8:9]
	v_cvt_u32_f64_e32 v10, v[2:3]
	global_store_dwordx2 v[4:5], v[10:11], off
	s_mov_b64 s[4:5], 0
.LBB8_987:
	s_mov_b64 s[6:7], 0
.LBB8_988:
	s_and_b64 vcc, exec, s[6:7]
	s_cbranch_vccz .LBB8_1003
; %bb.989:
	v_cmp_gt_i16_e32 vcc, 27, v6
	s_mov_b64 s[6:7], -1
	s_cbranch_vccnz .LBB8_995
; %bb.990:
	v_cmp_lt_i16_e32 vcc, 27, v6
	s_cbranch_vccz .LBB8_992
; %bb.991:
	v_cvt_u32_f64_e32 v2, v[0:1]
	s_mov_b64 s[6:7], 0
	global_store_dword v[4:5], v2, off
.LBB8_992:
	s_andn2_b64 vcc, exec, s[6:7]
	s_cbranch_vccnz .LBB8_994
; %bb.993:
	v_cvt_u32_f64_e32 v2, v[0:1]
	global_store_short v[4:5], v2, off
.LBB8_994:
	s_mov_b64 s[6:7], 0
.LBB8_995:
	s_andn2_b64 vcc, exec, s[6:7]
	s_cbranch_vccnz .LBB8_1003
; %bb.996:
	v_cvt_f32_f64_e32 v2, v[0:1]
	v_and_b32_e32 v3, 0x7fffffff, v2
	s_mov_b32 s6, 0x43800000
	v_cmp_gt_u32_e32 vcc, s6, v3
	v_mov_b32_e32 v7, 0x80
	s_and_saveexec_b64 s[6:7], vcc
	s_cbranch_execz .LBB8_1002
; %bb.997:
	s_mov_b32 s8, 0x3bffffff
	v_cmp_lt_u32_e32 vcc, s8, v3
	s_mov_b64 s[8:9], 0
                                        ; implicit-def: $vgpr3
	s_and_saveexec_b64 s[10:11], vcc
	s_xor_b64 s[10:11], exec, s[10:11]
	s_cbranch_execz .LBB8_1160
; %bb.998:
	v_bfe_u32 v3, v2, 20, 1
	s_mov_b32 s12, 0x487ffff
	v_add3_u32 v3, v2, v3, s12
	s_mov_b64 s[8:9], exec
	v_lshrrev_b32_e32 v3, 20, v3
	s_or_saveexec_b64 s[10:11], s[10:11]
                                        ; implicit-def: $sgpr12
	s_xor_b64 exec, exec, s[10:11]
	s_cbranch_execnz .LBB8_1161
.LBB8_999:
	s_or_b64 exec, exec, s[10:11]
	v_mov_b32_e32 v7, s12
	s_and_saveexec_b64 s[10:11], s[8:9]
.LBB8_1000:
	v_lshrrev_b32_e32 v2, 24, v2
	s_movk_i32 s8, 0x80
	v_and_or_b32 v7, v2, s8, v3
.LBB8_1001:
	s_or_b64 exec, exec, s[10:11]
.LBB8_1002:
	s_or_b64 exec, exec, s[6:7]
	global_store_byte v[4:5], v7, off
.LBB8_1003:
	s_mov_b64 s[8:9], 0
.LBB8_1004:
	s_mov_b64 s[6:7], 0
	s_and_b64 vcc, exec, s[8:9]
	s_cbranch_vccz .LBB8_1048
; %bb.1005:
	v_cmp_lt_i16_e32 vcc, 22, v6
	s_mov_b64 s[8:9], -1
	s_cbranch_vccz .LBB8_1037
; %bb.1006:
	v_cmp_gt_i16_e32 vcc, 24, v6
	s_cbranch_vccnz .LBB8_1026
; %bb.1007:
	v_cmp_lt_i16_e32 vcc, 24, v6
	s_cbranch_vccz .LBB8_1015
; %bb.1008:
	v_cvt_f32_f64_e32 v2, v[0:1]
	v_and_b32_e32 v3, 0x7fffffff, v2
	s_mov_b32 s8, 0x47800000
	v_cmp_gt_u32_e32 vcc, s8, v3
	v_mov_b32_e32 v7, 0x80
	s_and_saveexec_b64 s[8:9], vcc
	s_cbranch_execz .LBB8_1014
; %bb.1009:
	s_mov_b32 s10, 0x37ffffff
	v_cmp_lt_u32_e32 vcc, s10, v3
	s_mov_b64 s[10:11], 0
                                        ; implicit-def: $vgpr3
	s_and_saveexec_b64 s[12:13], vcc
	s_xor_b64 s[12:13], exec, s[12:13]
	s_cbranch_execz .LBB8_1285
; %bb.1010:
	v_bfe_u32 v3, v2, 21, 1
	s_mov_b32 s14, 0x88fffff
	v_add3_u32 v3, v2, v3, s14
	s_mov_b64 s[10:11], exec
	v_lshrrev_b32_e32 v3, 21, v3
	s_or_saveexec_b64 s[12:13], s[12:13]
                                        ; implicit-def: $sgpr14
	s_xor_b64 exec, exec, s[12:13]
	s_cbranch_execnz .LBB8_1286
.LBB8_1011:
	s_or_b64 exec, exec, s[12:13]
	v_mov_b32_e32 v7, s14
	s_and_saveexec_b64 s[12:13], s[10:11]
.LBB8_1012:
	v_lshrrev_b32_e32 v2, 24, v2
	s_movk_i32 s10, 0x80
	v_and_or_b32 v7, v2, s10, v3
.LBB8_1013:
	s_or_b64 exec, exec, s[12:13]
.LBB8_1014:
	s_or_b64 exec, exec, s[8:9]
	s_mov_b64 s[8:9], 0
	global_store_byte v[4:5], v7, off
.LBB8_1015:
	s_and_b64 vcc, exec, s[8:9]
	s_cbranch_vccz .LBB8_1025
; %bb.1016:
	v_cvt_f32_f64_e32 v2, v[0:1]
	v_and_b32_e32 v7, 0x7fffffff, v2
	s_mov_b32 s8, 0x43f00000
	v_cmp_gt_u32_e32 vcc, s8, v7
                                        ; implicit-def: $vgpr3
	s_and_saveexec_b64 s[8:9], vcc
	s_xor_b64 s[8:9], exec, s[8:9]
	s_cbranch_execz .LBB8_1022
; %bb.1017:
	s_mov_b32 s10, 0x3c7fffff
	v_cmp_lt_u32_e32 vcc, s10, v7
                                        ; implicit-def: $vgpr3
	s_and_saveexec_b64 s[10:11], vcc
	s_xor_b64 s[10:11], exec, s[10:11]
; %bb.1018:
	v_bfe_u32 v3, v2, 20, 1
	s_mov_b32 s12, 0x407ffff
	v_add3_u32 v3, v2, v3, s12
	v_lshrrev_b32_e32 v7, 20, v3
	v_and_b32_e32 v3, 0xff00000, v3
	s_mov_b32 s12, 0x7f00000
	v_mov_b32_e32 v8, 0x7e
	v_cmp_ne_u32_e32 vcc, s12, v3
	v_cndmask_b32_e32 v3, v8, v7, vcc
; %bb.1019:
	s_andn2_saveexec_b64 s[10:11], s[10:11]
; %bb.1020:
	s_mov_b32 s12, 0x46800000
	v_add_f32_e64 v3, |v2|, s12
; %bb.1021:
	s_or_b64 exec, exec, s[10:11]
                                        ; implicit-def: $vgpr7
.LBB8_1022:
	s_andn2_saveexec_b64 s[8:9], s[8:9]
; %bb.1023:
	s_mov_b32 s10, 0x7f800000
	v_mov_b32_e32 v3, 0x7e
	v_mov_b32_e32 v8, 0x7f
	v_cmp_lt_u32_e32 vcc, s10, v7
	v_cndmask_b32_e32 v3, v3, v8, vcc
; %bb.1024:
	s_or_b64 exec, exec, s[8:9]
	v_lshrrev_b32_e32 v2, 24, v2
	s_movk_i32 s8, 0x80
	v_and_or_b32 v2, v2, s8, v3
	global_store_byte v[4:5], v2, off
.LBB8_1025:
	s_mov_b64 s[8:9], 0
.LBB8_1026:
	s_andn2_b64 vcc, exec, s[8:9]
	s_cbranch_vccnz .LBB8_1036
; %bb.1027:
	v_cvt_f32_f64_e32 v2, v[0:1]
	v_and_b32_e32 v7, 0x7fffffff, v2
	s_mov_b32 s8, 0x47800000
	v_cmp_gt_u32_e32 vcc, s8, v7
                                        ; implicit-def: $vgpr3
	s_and_saveexec_b64 s[8:9], vcc
	s_xor_b64 s[8:9], exec, s[8:9]
	s_cbranch_execz .LBB8_1033
; %bb.1028:
	s_mov_b32 s10, 0x387fffff
	v_cmp_lt_u32_e32 vcc, s10, v7
                                        ; implicit-def: $vgpr3
	s_and_saveexec_b64 s[10:11], vcc
	s_xor_b64 s[10:11], exec, s[10:11]
; %bb.1029:
	v_bfe_u32 v3, v2, 21, 1
	s_mov_b32 s12, 0x80fffff
	v_add3_u32 v3, v2, v3, s12
	v_lshrrev_b32_e32 v3, 21, v3
; %bb.1030:
	s_andn2_saveexec_b64 s[10:11], s[10:11]
; %bb.1031:
	s_mov_b32 s12, 0x43000000
	v_add_f32_e64 v3, |v2|, s12
; %bb.1032:
	s_or_b64 exec, exec, s[10:11]
                                        ; implicit-def: $vgpr7
.LBB8_1033:
	s_andn2_saveexec_b64 s[8:9], s[8:9]
; %bb.1034:
	s_mov_b32 s10, 0x7f800000
	v_mov_b32_e32 v3, 0x7c
	v_mov_b32_e32 v8, 0x7f
	v_cmp_lt_u32_e32 vcc, s10, v7
	v_cndmask_b32_e32 v3, v3, v8, vcc
; %bb.1035:
	s_or_b64 exec, exec, s[8:9]
	v_lshrrev_b32_e32 v2, 24, v2
	s_movk_i32 s8, 0x80
	v_and_or_b32 v2, v2, s8, v3
	global_store_byte v[4:5], v2, off
.LBB8_1036:
	s_mov_b64 s[8:9], 0
.LBB8_1037:
	s_andn2_b64 vcc, exec, s[8:9]
	s_mov_b64 s[8:9], 0
	s_cbranch_vccnz .LBB8_1049
; %bb.1038:
	v_cmp_lt_i16_e32 vcc, 14, v6
	s_mov_b64 s[10:11], -1
	s_cbranch_vccz .LBB8_1042
; %bb.1039:
	v_cmp_eq_u16_e32 vcc, 15, v6
	s_mov_b64 s[4:5], -1
	s_cbranch_vccz .LBB8_1041
; %bb.1040:
	v_cvt_f32_f64_e32 v2, v[0:1]
	v_bfe_u32 v3, v2, 16, 1
	s_movk_i32 s4, 0x7fff
	v_add3_u32 v3, v2, v3, s4
	v_lshrrev_b32_e32 v3, 16, v3
	v_mov_b32_e32 v7, 0x7fc0
	v_cmp_o_f32_e32 vcc, v2, v2
	v_cndmask_b32_e32 v2, v7, v3, vcc
	global_store_short v[4:5], v2, off
	s_mov_b64 s[4:5], 0
.LBB8_1041:
	s_mov_b64 s[10:11], 0
.LBB8_1042:
	s_and_b64 vcc, exec, s[10:11]
	s_cbranch_vccz .LBB8_1049
; %bb.1043:
	v_cmp_ne_u16_e32 vcc, 11, v6
	s_andn2_b64 s[4:5], s[4:5], exec
	s_and_b64 s[10:11], vcc, exec
	s_mov_b64 s[8:9], -1
	s_or_b64 s[4:5], s[4:5], s[10:11]
	s_branch .LBB8_1049
.LBB8_1044:
	s_or_b64 exec, exec, s[44:45]
	s_and_saveexec_b64 s[4:5], s[66:67]
	s_cbranch_execnz .LBB8_1050
.LBB8_1045:
	s_or_b64 exec, exec, s[4:5]
	s_and_saveexec_b64 s[4:5], s[8:9]
	s_xor_b64 s[4:5], exec, s[4:5]
	s_cbranch_execz .LBB8_1051
.LBB8_1046:
	s_waitcnt vmcnt(0)
	v_cmp_neq_f64_e32 vcc, 0, v[0:1]
	v_cndmask_b32_e64 v2, 0, 1, vcc
	global_store_byte v[4:5], v2, off
	s_or_b64 exec, exec, s[4:5]
	s_and_saveexec_b64 s[4:5], s[6:7]
	s_xor_b64 s[4:5], exec, s[4:5]
	s_cbranch_execz .LBB8_1089
	s_branch .LBB8_1052
.LBB8_1047:
	s_mov_b64 s[8:9], 0
	s_mov_b64 s[6:7], -1
	s_mov_b64 s[4:5], s[66:67]
	s_branch .LBB8_1049
.LBB8_1048:
	s_mov_b64 s[8:9], 0
.LBB8_1049:
	s_andn2_b64 s[10:11], s[66:67], exec
	s_and_b64 s[4:5], s[4:5], exec
	s_and_b64 s[6:7], s[6:7], exec
	;; [unrolled: 1-line block ×3, first 2 shown]
	s_or_b64 s[66:67], s[10:11], s[4:5]
	s_or_b64 exec, exec, s[44:45]
	s_and_saveexec_b64 s[4:5], s[66:67]
	s_cbranch_execz .LBB8_1045
.LBB8_1050:
	s_or_b64 s[42:43], s[42:43], exec
	s_andn2_b64 s[8:9], s[8:9], exec
	s_trap 2
	s_or_b64 exec, exec, s[4:5]
	s_and_saveexec_b64 s[4:5], s[8:9]
	s_xor_b64 s[4:5], exec, s[4:5]
	s_cbranch_execnz .LBB8_1046
.LBB8_1051:
	s_or_b64 exec, exec, s[4:5]
	s_and_saveexec_b64 s[4:5], s[6:7]
	s_xor_b64 s[4:5], exec, s[4:5]
	s_cbranch_execz .LBB8_1089
.LBB8_1052:
	v_cmp_gt_i16_e32 vcc, 5, v6
	s_mov_b64 s[6:7], -1
	s_cbranch_vccnz .LBB8_1073
; %bb.1053:
	v_cmp_gt_i16_e32 vcc, 8, v6
	s_cbranch_vccnz .LBB8_1063
; %bb.1054:
	v_cmp_gt_i16_e32 vcc, 9, v6
	s_cbranch_vccnz .LBB8_1060
; %bb.1055:
	v_cmp_lt_i16_e32 vcc, 9, v6
	s_cbranch_vccz .LBB8_1057
; %bb.1056:
	s_waitcnt vmcnt(0)
	v_mov_b32_e32 v2, 0
	v_mov_b32_e32 v3, v2
	s_mov_b64 s[6:7], 0
	global_store_dwordx4 v[4:5], v[0:3], off
.LBB8_1057:
	s_andn2_b64 vcc, exec, s[6:7]
	s_cbranch_vccnz .LBB8_1059
; %bb.1058:
	s_waitcnt vmcnt(0)
	v_cvt_f32_f64_e32 v2, v[0:1]
	v_mov_b32_e32 v3, 0
	global_store_dwordx2 v[4:5], v[2:3], off
.LBB8_1059:
	s_mov_b64 s[6:7], 0
.LBB8_1060:
	s_andn2_b64 vcc, exec, s[6:7]
	s_cbranch_vccnz .LBB8_1062
; %bb.1061:
	s_waitcnt vmcnt(0)
	v_cvt_f32_f64_e32 v2, v[0:1]
	v_cvt_f16_f32_e32 v2, v2
	global_store_dword v[4:5], v2, off
.LBB8_1062:
	s_mov_b64 s[6:7], 0
.LBB8_1063:
	s_andn2_b64 vcc, exec, s[6:7]
	s_cbranch_vccnz .LBB8_1072
; %bb.1064:
	v_cmp_gt_i16_e32 vcc, 6, v6
	s_mov_b64 s[6:7], -1
	s_cbranch_vccnz .LBB8_1070
; %bb.1065:
	v_cmp_lt_i16_e32 vcc, 6, v6
	s_cbranch_vccz .LBB8_1067
; %bb.1066:
	s_mov_b64 s[6:7], 0
	s_waitcnt vmcnt(0)
	global_store_dwordx2 v[4:5], v[0:1], off
.LBB8_1067:
	s_andn2_b64 vcc, exec, s[6:7]
	s_cbranch_vccnz .LBB8_1069
; %bb.1068:
	s_waitcnt vmcnt(0)
	v_cvt_f32_f64_e32 v2, v[0:1]
	global_store_dword v[4:5], v2, off
.LBB8_1069:
	s_mov_b64 s[6:7], 0
.LBB8_1070:
	s_andn2_b64 vcc, exec, s[6:7]
	s_cbranch_vccnz .LBB8_1072
; %bb.1071:
	s_waitcnt vmcnt(0)
	v_cvt_f32_f64_e32 v2, v[0:1]
	v_cvt_f16_f32_e32 v2, v2
	global_store_short v[4:5], v2, off
.LBB8_1072:
	s_mov_b64 s[6:7], 0
.LBB8_1073:
	s_andn2_b64 vcc, exec, s[6:7]
	s_cbranch_vccnz .LBB8_1089
; %bb.1074:
	v_cmp_gt_i16_e32 vcc, 2, v6
	s_mov_b64 s[6:7], -1
	s_cbranch_vccnz .LBB8_1084
; %bb.1075:
	v_cmp_gt_i16_e32 vcc, 3, v6
	s_cbranch_vccnz .LBB8_1081
; %bb.1076:
	v_cmp_lt_i16_e32 vcc, 3, v6
	s_cbranch_vccz .LBB8_1078
; %bb.1077:
	s_waitcnt vmcnt(0)
	v_trunc_f64_e32 v[2:3], v[0:1]
	s_movk_i32 s6, 0xffe0
	v_ldexp_f64 v[8:9], v[2:3], s6
	v_floor_f64_e32 v[8:9], v[8:9]
	v_fmac_f64_e32 v[2:3], 0xc1f00000, v[8:9]
	v_cvt_i32_f64_e32 v11, v[8:9]
	v_cvt_u32_f64_e32 v10, v[2:3]
	s_mov_b64 s[6:7], 0
	global_store_dwordx2 v[4:5], v[10:11], off
.LBB8_1078:
	s_andn2_b64 vcc, exec, s[6:7]
	s_cbranch_vccnz .LBB8_1080
; %bb.1079:
	s_waitcnt vmcnt(0)
	v_cvt_i32_f64_e32 v2, v[0:1]
	global_store_dword v[4:5], v2, off
.LBB8_1080:
	s_mov_b64 s[6:7], 0
.LBB8_1081:
	s_andn2_b64 vcc, exec, s[6:7]
	s_cbranch_vccnz .LBB8_1083
; %bb.1082:
	s_waitcnt vmcnt(0)
	v_cvt_i32_f64_e32 v2, v[0:1]
	global_store_short v[4:5], v2, off
.LBB8_1083:
	s_mov_b64 s[6:7], 0
.LBB8_1084:
	s_andn2_b64 vcc, exec, s[6:7]
	s_cbranch_vccnz .LBB8_1089
; %bb.1085:
	v_cmp_lt_i16_e32 vcc, 0, v6
	s_mov_b64 s[6:7], -1
	s_cbranch_vccz .LBB8_1087
; %bb.1086:
	s_waitcnt vmcnt(0)
	v_cvt_i32_f64_e32 v2, v[0:1]
	s_mov_b64 s[6:7], 0
	global_store_byte v[4:5], v2, off
.LBB8_1087:
	s_andn2_b64 vcc, exec, s[6:7]
	s_cbranch_vccnz .LBB8_1089
; %bb.1088:
	s_waitcnt vmcnt(0)
	v_trunc_f64_e32 v[0:1], v[0:1]
	s_movk_i32 s6, 0xffe0
	v_ldexp_f64 v[2:3], v[0:1], s6
	v_floor_f64_e32 v[2:3], v[2:3]
	v_fmac_f64_e32 v[0:1], 0xc1f00000, v[2:3]
	v_cvt_u32_f64_e32 v0, v[0:1]
	global_store_byte v[4:5], v0, off
.LBB8_1089:
	s_or_b64 exec, exec, s[4:5]
	s_and_b64 s[44:45], s[42:43], exec
                                        ; implicit-def: $vgpr3
                                        ; implicit-def: $vgpr45
.LBB8_1090:
	s_or_saveexec_b64 s[46:47], s[56:57]
	s_mov_b64 s[4:5], 0
                                        ; implicit-def: $vgpr4_vgpr5
                                        ; implicit-def: $vgpr6
                                        ; implicit-def: $vgpr0_vgpr1
	s_xor_b64 exec, exec, s[46:47]
	s_cbranch_execz .LBB8_2114
; %bb.1091:
	s_waitcnt vmcnt(0)
	v_cndmask_b32_e64 v0, 0, 1, s[54:55]
	v_cmp_ne_u32_e64 s[4:5], 1, v0
	s_andn2_b64 vcc, exec, s[54:55]
	s_cbranch_vccnz .LBB8_1098
; %bb.1092:
	s_mov_b32 s6, 0
	s_cmp_lg_u32 s82, 0
	v_mov_b32_e32 v0, 0
	v_mov_b32_e32 v62, 0
	s_cbranch_scc0 .LBB8_1097
; %bb.1093:
	s_min_u32 s33, s83, 15
	s_add_i32 s33, s33, 1
	s_cmp_eq_u32 s83, 2
	s_cbranch_scc1 .LBB8_1099
; %bb.1094:
	s_add_u32 s28, s38, 0xc4
	s_addc_u32 s29, s39, 0
	s_and_b32 s6, s33, 28
	s_mov_b32 s7, 0
	v_mov_b32_e32 v62, 0
	s_mov_b64 s[30:31], s[38:39]
	v_mov_b32_e32 v1, v45
	v_mov_b32_e32 v0, 0
.LBB8_1095:                             ; =>This Inner Loop Header: Depth=1
	s_load_dwordx8 s[16:23], s[30:31], 0x4
	s_load_dwordx4 s[24:27], s[30:31], 0x24
	s_load_dwordx8 s[8:15], s[28:29], 0x0
	s_add_u32 s30, s30, 48
	s_addc_u32 s31, s31, 0
	s_waitcnt lgkmcnt(0)
	v_mul_hi_u32 v2, s17, v1
	v_add_u32_e32 v2, v1, v2
	v_lshrrev_b32_e32 v2, s18, v2
	v_mul_lo_u32 v4, v2, s16
	v_mul_hi_u32 v5, s20, v2
	v_sub_u32_e32 v1, v1, v4
	v_add_u32_e32 v4, v2, v5
	v_lshrrev_b32_e32 v4, s21, v4
	v_mul_lo_u32 v6, v4, s19
	v_mul_hi_u32 v7, s23, v4
	v_sub_u32_e32 v2, v2, v6
	v_add_u32_e32 v6, v4, v7
	v_mul_lo_u32 v5, v1, s9
	v_mul_lo_u32 v1, v1, s8
	v_mul_lo_u32 v7, v2, s11
	v_mul_lo_u32 v2, v2, s10
	v_lshrrev_b32_e32 v6, s24, v6
	v_add3_u32 v2, v1, v62, v2
	v_add3_u32 v0, v5, v0, v7
	v_mul_lo_u32 v1, v6, s22
	v_mul_hi_u32 v5, s26, v6
	v_sub_u32_e32 v1, v4, v1
	v_add_u32_e32 v4, v6, v5
	v_mul_lo_u32 v5, v1, s12
	v_mul_lo_u32 v7, v1, s13
	v_lshrrev_b32_e32 v1, s27, v4
	s_add_i32 s7, s7, 4
	v_mul_lo_u32 v4, v1, s25
	s_add_u32 s28, s28, 32
	v_sub_u32_e32 v4, v6, v4
	s_addc_u32 s29, s29, 0
	v_mul_lo_u32 v6, v4, s14
	v_mul_lo_u32 v4, v4, s15
	s_cmp_lg_u32 s6, s7
	v_add3_u32 v0, v7, v0, v4
	v_add3_u32 v62, v5, v2, v6
	s_cbranch_scc1 .LBB8_1095
; %bb.1096:
	v_mov_b32_e32 v63, v0
	s_and_b32 s10, s33, 3
	s_cmp_eq_u32 s10, 0
	s_cbranch_scc0 .LBB8_1100
.LBB8_1097:
	s_cbranch_execz .LBB8_1103
	s_branch .LBB8_1105
.LBB8_1098:
                                        ; implicit-def: $vgpr0
                                        ; implicit-def: $vgpr62
	s_branch .LBB8_1103
.LBB8_1099:
	s_mov_b32 s7, s6
	v_pk_mov_b32 v[62:63], s[6:7], s[6:7] op_sel:[0,1]
                                        ; implicit-def: $vgpr0
	v_mov_b32_e32 v1, v45
	s_and_b32 s10, s33, 3
	s_cmp_eq_u32 s10, 0
	s_cbranch_scc1 .LBB8_1097
.LBB8_1100:
	s_lshl_b32 s7, s6, 3
	s_add_u32 s7, s7, s38
	s_addc_u32 s9, 0, s39
	s_add_u32 s8, s7, 0xc4
	s_addc_u32 s9, s9, 0
	s_mul_i32 s6, s6, 12
	s_add_u32 s6, s38, s6
	s_addc_u32 s7, 0, s39
.LBB8_1101:                             ; =>This Inner Loop Header: Depth=1
	s_load_dwordx2 s[12:13], s[6:7], 0x4
	s_load_dword s11, s[6:7], 0xc
	s_load_dwordx2 s[14:15], s[8:9], 0x0
	s_add_u32 s6, s6, 12
	s_addc_u32 s7, s7, 0
	s_waitcnt lgkmcnt(0)
	v_mul_hi_u32 v2, s13, v1
	v_add_u32_e32 v2, v1, v2
	v_lshrrev_b32_e32 v2, s11, v2
	v_mul_lo_u32 v4, v2, s12
	v_mov_b32_e32 v0, v63
	s_add_u32 s8, s8, 8
	v_sub_u32_e32 v6, v1, v4
	v_mov_b32_e32 v1, v2
	s_addc_u32 s9, s9, 0
	s_add_i32 s10, s10, -1
	v_mad_u64_u32 v[4:5], s[12:13], v6, s15, v[0:1]
	v_mad_u64_u32 v[62:63], s[12:13], v6, s14, v[62:63]
	s_cmp_lg_u32 s10, 0
	v_mov_b32_e32 v63, v4
	s_cbranch_scc1 .LBB8_1101
; %bb.1102:
	v_mov_b32_e32 v0, v63
	s_cbranch_execnz .LBB8_1105
.LBB8_1103:
	s_load_dwordx4 s[8:11], s[38:39], 0x4
	s_load_dwordx2 s[6:7], s[38:39], 0xc4
	s_cmp_lt_u32 s82, 2
	s_waitcnt lgkmcnt(0)
	v_mul_hi_u32 v0, s9, v45
	v_add_u32_e32 v0, v45, v0
	v_lshrrev_b32_e32 v1, s10, v0
	v_mul_lo_u32 v0, v1, s8
	v_sub_u32_e32 v2, v45, v0
	v_mul_lo_u32 v0, v2, s7
	v_mul_lo_u32 v62, v2, s6
	s_cbranch_scc1 .LBB8_1105
; %bb.1104:
	s_load_dwordx4 s[8:11], s[38:39], 0x10
	s_load_dwordx2 s[6:7], s[38:39], 0xcc
	s_waitcnt lgkmcnt(0)
	v_mul_hi_u32 v2, s9, v1
	v_add_u32_e32 v2, v1, v2
	v_lshrrev_b32_e32 v2, s10, v2
	v_mul_lo_u32 v2, v2, s8
	v_sub_u32_e32 v1, v1, v2
	v_mad_u64_u32 v[62:63], s[8:9], v1, s6, v[62:63]
	v_mad_u64_u32 v[0:1], s[6:7], v1, s7, v[0:1]
.LBB8_1105:
	s_and_b64 vcc, exec, s[4:5]
	v_add_u32_e32 v1, 0x80, v45
	s_cbranch_vccnz .LBB8_1112
; %bb.1106:
	s_mov_b32 s6, 0
	s_cmp_lg_u32 s82, 0
	v_mov_b32_e32 v6, 0
	v_mov_b32_e32 v60, 0
	s_cbranch_scc0 .LBB8_1111
; %bb.1107:
	s_min_u32 s33, s83, 15
	s_add_i32 s33, s33, 1
	s_cmp_eq_u32 s83, 2
	s_cbranch_scc1 .LBB8_1113
; %bb.1108:
	s_add_u32 s28, s38, 0xc4
	s_addc_u32 s29, s39, 0
	s_and_b32 s6, s33, 28
	s_mov_b32 s7, 0
	v_mov_b32_e32 v60, 0
	s_mov_b64 s[30:31], s[38:39]
	v_mov_b32_e32 v2, v1
	v_mov_b32_e32 v6, 0
.LBB8_1109:                             ; =>This Inner Loop Header: Depth=1
	s_load_dwordx8 s[16:23], s[30:31], 0x4
	s_load_dwordx4 s[24:27], s[30:31], 0x24
	s_load_dwordx8 s[8:15], s[28:29], 0x0
	s_add_u32 s30, s30, 48
	s_addc_u32 s31, s31, 0
	s_waitcnt lgkmcnt(0)
	v_mul_hi_u32 v4, s17, v2
	v_add_u32_e32 v4, v2, v4
	v_lshrrev_b32_e32 v4, s18, v4
	v_mul_lo_u32 v5, v4, s16
	v_mul_hi_u32 v7, s20, v4
	v_sub_u32_e32 v2, v2, v5
	v_add_u32_e32 v5, v4, v7
	v_lshrrev_b32_e32 v5, s21, v5
	v_mul_lo_u32 v8, v5, s19
	v_mul_hi_u32 v9, s23, v5
	v_sub_u32_e32 v4, v4, v8
	v_add_u32_e32 v8, v5, v9
	v_mul_lo_u32 v7, v2, s9
	v_mul_lo_u32 v2, v2, s8
	;; [unrolled: 1-line block ×4, first 2 shown]
	v_lshrrev_b32_e32 v8, s24, v8
	v_add3_u32 v4, v2, v60, v4
	v_add3_u32 v6, v7, v6, v9
	v_mul_lo_u32 v2, v8, s22
	v_mul_hi_u32 v7, s26, v8
	v_sub_u32_e32 v2, v5, v2
	v_add_u32_e32 v5, v8, v7
	v_mul_lo_u32 v7, v2, s12
	v_mul_lo_u32 v9, v2, s13
	v_lshrrev_b32_e32 v2, s27, v5
	s_add_i32 s7, s7, 4
	v_mul_lo_u32 v5, v2, s25
	s_add_u32 s28, s28, 32
	v_sub_u32_e32 v5, v8, v5
	s_addc_u32 s29, s29, 0
	v_mul_lo_u32 v8, v5, s14
	v_mul_lo_u32 v5, v5, s15
	s_cmp_lg_u32 s6, s7
	v_add3_u32 v6, v9, v6, v5
	v_add3_u32 v60, v7, v4, v8
	s_cbranch_scc1 .LBB8_1109
; %bb.1110:
	v_mov_b32_e32 v61, v6
	s_and_b32 s10, s33, 3
	s_cmp_eq_u32 s10, 0
	s_cbranch_scc0 .LBB8_1114
.LBB8_1111:
	s_cbranch_execz .LBB8_1117
	s_branch .LBB8_1119
.LBB8_1112:
                                        ; implicit-def: $vgpr6
                                        ; implicit-def: $vgpr60
	s_branch .LBB8_1117
.LBB8_1113:
	s_mov_b32 s7, s6
	v_pk_mov_b32 v[60:61], s[6:7], s[6:7] op_sel:[0,1]
                                        ; implicit-def: $vgpr6
	v_mov_b32_e32 v2, v1
	s_and_b32 s10, s33, 3
	s_cmp_eq_u32 s10, 0
	s_cbranch_scc1 .LBB8_1111
.LBB8_1114:
	s_lshl_b32 s7, s6, 3
	s_add_u32 s7, s7, s38
	s_addc_u32 s9, 0, s39
	s_add_u32 s8, s7, 0xc4
	s_addc_u32 s9, s9, 0
	s_mul_i32 s6, s6, 12
	s_add_u32 s6, s38, s6
	s_addc_u32 s7, 0, s39
.LBB8_1115:                             ; =>This Inner Loop Header: Depth=1
	s_load_dwordx2 s[12:13], s[6:7], 0x4
	s_load_dword s11, s[6:7], 0xc
	s_load_dwordx2 s[14:15], s[8:9], 0x0
	s_add_u32 s6, s6, 12
	s_addc_u32 s7, s7, 0
	s_waitcnt lgkmcnt(0)
	v_mul_hi_u32 v5, s13, v2
	v_add_u32_e32 v5, v2, v5
	v_lshrrev_b32_e32 v5, s11, v5
	v_mul_lo_u32 v6, v5, s12
	v_mov_b32_e32 v4, v61
	s_add_u32 s8, s8, 8
	v_sub_u32_e32 v6, v2, v6
	s_addc_u32 s9, s9, 0
	s_add_i32 s10, s10, -1
	v_mov_b32_e32 v2, v5
	v_mad_u64_u32 v[4:5], s[12:13], v6, s15, v[4:5]
	v_mad_u64_u32 v[60:61], s[12:13], v6, s14, v[60:61]
	s_cmp_lg_u32 s10, 0
	v_mov_b32_e32 v61, v4
	s_cbranch_scc1 .LBB8_1115
; %bb.1116:
	v_mov_b32_e32 v6, v61
	s_cbranch_execnz .LBB8_1119
.LBB8_1117:
	s_load_dwordx4 s[8:11], s[38:39], 0x4
	s_load_dwordx2 s[6:7], s[38:39], 0xc4
	s_cmp_lt_u32 s82, 2
	s_waitcnt lgkmcnt(0)
	v_mul_hi_u32 v2, s9, v1
	v_add_u32_e32 v2, v1, v2
	v_lshrrev_b32_e32 v2, s10, v2
	v_mul_lo_u32 v4, v2, s8
	v_sub_u32_e32 v1, v1, v4
	v_mul_lo_u32 v6, v1, s7
	v_mul_lo_u32 v60, v1, s6
	s_cbranch_scc1 .LBB8_1119
; %bb.1118:
	s_load_dwordx4 s[8:11], s[38:39], 0x10
	s_load_dwordx2 s[6:7], s[38:39], 0xcc
	s_waitcnt lgkmcnt(0)
	v_mul_hi_u32 v1, s9, v2
	v_add_u32_e32 v1, v2, v1
	v_lshrrev_b32_e32 v1, s10, v1
	v_mul_lo_u32 v1, v1, s8
	v_sub_u32_e32 v1, v2, v1
	v_mad_u64_u32 v[60:61], s[8:9], v1, s6, v[60:61]
	v_mad_u64_u32 v[6:7], s[6:7], v1, s7, v[6:7]
.LBB8_1119:
	s_and_b64 vcc, exec, s[4:5]
	v_add_u32_e32 v1, 0x100, v45
	s_cbranch_vccnz .LBB8_1126
; %bb.1120:
	s_mov_b32 s6, 0
	s_cmp_lg_u32 s82, 0
	v_mov_b32_e32 v4, 0
	v_mov_b32_e32 v58, 0
	s_cbranch_scc0 .LBB8_1125
; %bb.1121:
	s_min_u32 s33, s83, 15
	s_add_i32 s33, s33, 1
	s_cmp_eq_u32 s83, 2
	s_cbranch_scc1 .LBB8_1127
; %bb.1122:
	s_add_u32 s28, s38, 0xc4
	s_addc_u32 s29, s39, 0
	s_and_b32 s6, s33, 28
	s_mov_b32 s7, 0
	v_mov_b32_e32 v58, 0
	s_mov_b64 s[30:31], s[38:39]
	v_mov_b32_e32 v2, v1
	v_mov_b32_e32 v4, 0
.LBB8_1123:                             ; =>This Inner Loop Header: Depth=1
	s_load_dwordx8 s[16:23], s[30:31], 0x4
	s_load_dwordx4 s[24:27], s[30:31], 0x24
	s_load_dwordx8 s[8:15], s[28:29], 0x0
	s_add_u32 s30, s30, 48
	s_addc_u32 s31, s31, 0
	s_waitcnt lgkmcnt(0)
	v_mul_hi_u32 v5, s17, v2
	v_add_u32_e32 v5, v2, v5
	v_lshrrev_b32_e32 v5, s18, v5
	v_mul_lo_u32 v7, v5, s16
	v_mul_hi_u32 v8, s20, v5
	v_sub_u32_e32 v2, v2, v7
	v_add_u32_e32 v7, v5, v8
	v_lshrrev_b32_e32 v7, s21, v7
	v_mul_lo_u32 v9, v7, s19
	v_mul_hi_u32 v10, s23, v7
	v_sub_u32_e32 v5, v5, v9
	v_add_u32_e32 v9, v7, v10
	v_mul_lo_u32 v8, v2, s9
	v_mul_lo_u32 v2, v2, s8
	;; [unrolled: 1-line block ×4, first 2 shown]
	v_lshrrev_b32_e32 v9, s24, v9
	v_add3_u32 v5, v2, v58, v5
	v_add3_u32 v4, v8, v4, v10
	v_mul_lo_u32 v2, v9, s22
	v_mul_hi_u32 v8, s26, v9
	v_sub_u32_e32 v2, v7, v2
	v_add_u32_e32 v7, v9, v8
	v_mul_lo_u32 v8, v2, s12
	v_mul_lo_u32 v10, v2, s13
	v_lshrrev_b32_e32 v2, s27, v7
	s_add_i32 s7, s7, 4
	v_mul_lo_u32 v7, v2, s25
	s_add_u32 s28, s28, 32
	v_sub_u32_e32 v7, v9, v7
	s_addc_u32 s29, s29, 0
	v_mul_lo_u32 v9, v7, s14
	v_mul_lo_u32 v7, v7, s15
	s_cmp_lg_u32 s6, s7
	v_add3_u32 v4, v10, v4, v7
	v_add3_u32 v58, v8, v5, v9
	s_cbranch_scc1 .LBB8_1123
; %bb.1124:
	v_mov_b32_e32 v59, v4
	s_and_b32 s10, s33, 3
	s_cmp_eq_u32 s10, 0
	s_cbranch_scc0 .LBB8_1128
.LBB8_1125:
	s_cbranch_execz .LBB8_1131
	s_branch .LBB8_1133
.LBB8_1126:
                                        ; implicit-def: $vgpr4
                                        ; implicit-def: $vgpr58
	s_branch .LBB8_1131
.LBB8_1127:
	s_mov_b32 s7, s6
	v_pk_mov_b32 v[58:59], s[6:7], s[6:7] op_sel:[0,1]
                                        ; implicit-def: $vgpr4
	v_mov_b32_e32 v2, v1
	s_and_b32 s10, s33, 3
	s_cmp_eq_u32 s10, 0
	s_cbranch_scc1 .LBB8_1125
.LBB8_1128:
	s_lshl_b32 s7, s6, 3
	s_add_u32 s7, s7, s38
	s_addc_u32 s9, 0, s39
	s_add_u32 s8, s7, 0xc4
	s_addc_u32 s9, s9, 0
	s_mul_i32 s6, s6, 12
	s_add_u32 s6, s38, s6
	s_addc_u32 s7, 0, s39
.LBB8_1129:                             ; =>This Inner Loop Header: Depth=1
	s_load_dwordx2 s[12:13], s[6:7], 0x4
	s_load_dword s11, s[6:7], 0xc
	s_load_dwordx2 s[14:15], s[8:9], 0x0
	s_add_u32 s6, s6, 12
	s_addc_u32 s7, s7, 0
	s_waitcnt lgkmcnt(0)
	v_mul_hi_u32 v5, s13, v2
	v_add_u32_e32 v5, v2, v5
	v_lshrrev_b32_e32 v5, s11, v5
	v_mul_lo_u32 v7, v5, s12
	v_mov_b32_e32 v4, v59
	s_add_u32 s8, s8, 8
	v_sub_u32_e32 v7, v2, v7
	s_addc_u32 s9, s9, 0
	s_add_i32 s10, s10, -1
	v_mov_b32_e32 v2, v5
	v_mad_u64_u32 v[4:5], s[12:13], v7, s15, v[4:5]
	v_mad_u64_u32 v[58:59], s[12:13], v7, s14, v[58:59]
	s_cmp_lg_u32 s10, 0
	v_mov_b32_e32 v59, v4
	s_cbranch_scc1 .LBB8_1129
; %bb.1130:
	v_mov_b32_e32 v4, v59
	s_cbranch_execnz .LBB8_1133
.LBB8_1131:
	s_load_dwordx4 s[8:11], s[38:39], 0x4
	s_load_dwordx2 s[6:7], s[38:39], 0xc4
	s_cmp_lt_u32 s82, 2
	s_waitcnt lgkmcnt(0)
	v_mul_hi_u32 v2, s9, v1
	v_add_u32_e32 v2, v1, v2
	v_lshrrev_b32_e32 v2, s10, v2
	v_mul_lo_u32 v4, v2, s8
	v_sub_u32_e32 v1, v1, v4
	v_mul_lo_u32 v4, v1, s7
	v_mul_lo_u32 v58, v1, s6
	s_cbranch_scc1 .LBB8_1133
; %bb.1132:
	s_load_dwordx4 s[8:11], s[38:39], 0x10
	s_load_dwordx2 s[6:7], s[38:39], 0xcc
	s_waitcnt lgkmcnt(0)
	v_mul_hi_u32 v1, s9, v2
	v_add_u32_e32 v1, v2, v1
	v_lshrrev_b32_e32 v1, s10, v1
	v_mul_lo_u32 v1, v1, s8
	v_sub_u32_e32 v1, v2, v1
	v_mad_u64_u32 v[58:59], s[8:9], v1, s6, v[58:59]
	v_mad_u64_u32 v[4:5], s[6:7], v1, s7, v[4:5]
.LBB8_1133:
	s_and_b64 vcc, exec, s[4:5]
	s_cbranch_vccnz .LBB8_1140
; %bb.1134:
	s_mov_b32 s24, 0
	s_cmp_lg_u32 s82, 0
	v_mov_b32_e32 v2, 0
	v_mov_b32_e32 v56, 0
	s_cbranch_scc0 .LBB8_1139
; %bb.1135:
	s_min_u32 s30, s83, 15
	s_add_i32 s30, s30, 1
	s_cmp_eq_u32 s83, 2
	s_cbranch_scc1 .LBB8_1141
; %bb.1136:
	s_add_u32 s26, s38, 0xc4
	s_addc_u32 s27, s39, 0
	s_and_b32 s24, s30, 28
	s_mov_b32 s25, 0
	v_mov_b32_e32 v56, 0
	s_mov_b64 s[28:29], s[38:39]
	v_mov_b32_e32 v1, v3
	v_mov_b32_e32 v2, 0
.LBB8_1137:                             ; =>This Inner Loop Header: Depth=1
	s_load_dwordx8 s[12:19], s[28:29], 0x4
	s_load_dwordx4 s[20:23], s[28:29], 0x24
	s_load_dwordx8 s[4:11], s[26:27], 0x0
	s_add_u32 s28, s28, 48
	s_addc_u32 s29, s29, 0
	s_waitcnt lgkmcnt(0)
	v_mul_hi_u32 v5, s13, v1
	v_add_u32_e32 v5, v1, v5
	v_lshrrev_b32_e32 v5, s14, v5
	v_mul_lo_u32 v7, v5, s12
	v_mul_hi_u32 v8, s16, v5
	v_sub_u32_e32 v1, v1, v7
	v_add_u32_e32 v7, v5, v8
	v_lshrrev_b32_e32 v7, s17, v7
	v_mul_lo_u32 v9, v7, s15
	v_mul_hi_u32 v10, s19, v7
	v_sub_u32_e32 v5, v5, v9
	v_add_u32_e32 v9, v7, v10
	v_mul_lo_u32 v8, v1, s5
	v_mul_lo_u32 v1, v1, s4
	;; [unrolled: 1-line block ×4, first 2 shown]
	v_lshrrev_b32_e32 v9, s20, v9
	v_add3_u32 v5, v1, v56, v5
	v_add3_u32 v2, v8, v2, v10
	v_mul_lo_u32 v1, v9, s18
	v_mul_hi_u32 v8, s22, v9
	v_sub_u32_e32 v1, v7, v1
	v_add_u32_e32 v7, v9, v8
	v_mul_lo_u32 v8, v1, s8
	v_mul_lo_u32 v10, v1, s9
	v_lshrrev_b32_e32 v1, s23, v7
	s_add_i32 s25, s25, 4
	v_mul_lo_u32 v7, v1, s21
	s_add_u32 s26, s26, 32
	v_sub_u32_e32 v7, v9, v7
	s_addc_u32 s27, s27, 0
	v_mul_lo_u32 v9, v7, s10
	v_mul_lo_u32 v7, v7, s11
	s_cmp_lg_u32 s24, s25
	v_add3_u32 v2, v10, v2, v7
	v_add3_u32 v56, v8, v5, v9
	s_cbranch_scc1 .LBB8_1137
; %bb.1138:
	v_mov_b32_e32 v57, v2
	s_and_b32 s8, s30, 3
	s_cmp_eq_u32 s8, 0
	s_cbranch_scc0 .LBB8_1142
.LBB8_1139:
	s_cbranch_execz .LBB8_1145
	s_branch .LBB8_1147
.LBB8_1140:
                                        ; implicit-def: $vgpr2
                                        ; implicit-def: $vgpr56
	s_branch .LBB8_1145
.LBB8_1141:
	s_mov_b32 s25, s24
	v_pk_mov_b32 v[56:57], s[24:25], s[24:25] op_sel:[0,1]
                                        ; implicit-def: $vgpr2
	v_mov_b32_e32 v1, v3
	s_and_b32 s8, s30, 3
	s_cmp_eq_u32 s8, 0
	s_cbranch_scc1 .LBB8_1139
.LBB8_1142:
	s_lshl_b32 s4, s24, 3
	s_add_u32 s4, s4, s38
	s_addc_u32 s5, 0, s39
	s_add_u32 s4, s4, 0xc4
	s_addc_u32 s5, s5, 0
	s_mul_i32 s6, s24, 12
	s_add_u32 s6, s38, s6
	s_addc_u32 s7, 0, s39
.LBB8_1143:                             ; =>This Inner Loop Header: Depth=1
	s_load_dwordx2 s[10:11], s[6:7], 0x4
	s_load_dword s9, s[6:7], 0xc
	s_load_dwordx2 s[12:13], s[4:5], 0x0
	s_add_u32 s6, s6, 12
	s_addc_u32 s7, s7, 0
	s_waitcnt lgkmcnt(0)
	v_mul_hi_u32 v5, s11, v1
	v_add_u32_e32 v5, v1, v5
	v_lshrrev_b32_e32 v5, s9, v5
	v_mul_lo_u32 v7, v5, s10
	v_mov_b32_e32 v2, v57
	s_add_u32 s4, s4, 8
	v_sub_u32_e32 v7, v1, v7
	s_addc_u32 s5, s5, 0
	s_add_i32 s8, s8, -1
	v_mad_u64_u32 v[8:9], s[10:11], v7, s13, v[2:3]
	v_mad_u64_u32 v[56:57], s[10:11], v7, s12, v[56:57]
	s_cmp_lg_u32 s8, 0
	v_mov_b32_e32 v1, v5
	v_mov_b32_e32 v57, v8
	s_cbranch_scc1 .LBB8_1143
; %bb.1144:
	v_mov_b32_e32 v2, v57
	s_cbranch_execnz .LBB8_1147
.LBB8_1145:
	s_load_dwordx4 s[4:7], s[38:39], 0x4
	s_load_dwordx2 s[8:9], s[38:39], 0xc4
	s_cmp_lt_u32 s82, 2
	s_waitcnt lgkmcnt(0)
	v_mul_hi_u32 v1, s5, v3
	v_add_u32_e32 v1, v3, v1
	v_lshrrev_b32_e32 v1, s6, v1
	v_mul_lo_u32 v2, v1, s4
	v_sub_u32_e32 v3, v3, v2
	v_mul_lo_u32 v2, v3, s9
	v_mul_lo_u32 v56, v3, s8
	s_cbranch_scc1 .LBB8_1147
; %bb.1146:
	s_load_dwordx4 s[4:7], s[38:39], 0x10
	s_load_dwordx2 s[8:9], s[38:39], 0xcc
	s_waitcnt lgkmcnt(0)
	v_mul_hi_u32 v3, s5, v1
	v_add_u32_e32 v3, v1, v3
	v_lshrrev_b32_e32 v3, s6, v3
	v_mul_lo_u32 v3, v3, s4
	v_sub_u32_e32 v1, v1, v3
	v_mad_u64_u32 v[56:57], s[4:5], v1, s8, v[56:57]
	v_mad_u64_u32 v[2:3], s[4:5], v1, s9, v[2:3]
.LBB8_1147:
	s_load_dword s16, s[36:37], 0x160
	s_load_dwordx4 s[40:43], s[38:39], 0x148
	s_waitcnt lgkmcnt(0)
	s_lshr_b32 s17, s16, 16
	v_mov_b32_e32 v1, s43
	v_add_co_u32_e32 v8, vcc, s42, v0
	v_mov_b32_e32 v0, 11
	v_addc_co_u32_e32 v9, vcc, 0, v1, vcc
	v_cmp_lt_i16_sdwa s[4:5], s17, v0 src0_sel:BYTE_0 src1_sel:DWORD
	s_and_b64 vcc, exec, s[4:5]
	s_cbranch_vccnz .LBB8_1154
; %bb.1148:
	v_mov_b32_e32 v0, 25
	v_cmp_gt_i16_sdwa s[4:5], s17, v0 src0_sel:BYTE_0 src1_sel:DWORD
	s_mov_b64 s[6:7], 0
	s_and_b64 vcc, exec, s[4:5]
	s_cbranch_vccz .LBB8_1156
; %bb.1149:
	v_mov_b32_e32 v0, 28
	v_cmp_gt_i16_sdwa s[4:5], s17, v0 src0_sel:BYTE_0 src1_sel:DWORD
	s_and_b64 vcc, exec, s[4:5]
	s_cbranch_vccz .LBB8_1157
; %bb.1150:
	v_mov_b32_e32 v0, 43
	v_cmp_gt_i16_sdwa s[4:5], s17, v0 src0_sel:BYTE_0 src1_sel:DWORD
	;; [unrolled: 5-line block ×3, first 2 shown]
	s_and_b64 vcc, exec, s[4:5]
	s_cbranch_vccz .LBB8_1159
; %bb.1152:
	v_mov_b32_e32 v0, 46
	v_cmp_eq_u16_sdwa s[4:5], s17, v0 src0_sel:BYTE_0 src1_sel:DWORD
	s_mov_b64 s[10:11], 0
	s_and_b64 vcc, exec, s[4:5]
	s_cbranch_vccz .LBB8_1162
; %bb.1153:
	global_load_dword v0, v[8:9], off
	s_mov_b64 s[4:5], 0
	s_mov_b64 s[8:9], -1
	s_waitcnt vmcnt(0)
	v_lshlrev_b32_e32 v0, 16, v0
	v_cvt_f64_f32_e32 v[0:1], v0
	s_branch .LBB8_1163
.LBB8_1154:
	s_mov_b64 s[8:9], 0
                                        ; implicit-def: $vgpr0_vgpr1
	s_mov_b64 s[36:37], s[44:45]
	s_cbranch_execnz .LBB8_1226
.LBB8_1155:
	s_andn2_b64 vcc, exec, s[8:9]
	s_cbranch_vccz .LBB8_1271
	s_branch .LBB8_2112
.LBB8_1156:
	s_mov_b64 s[8:9], 0
	s_mov_b64 s[4:5], 0
                                        ; implicit-def: $vgpr0_vgpr1
	s_cbranch_execnz .LBB8_1191
	s_branch .LBB8_1222
.LBB8_1157:
	s_mov_b64 s[10:11], -1
	s_mov_b64 s[8:9], 0
	s_mov_b64 s[4:5], 0
                                        ; implicit-def: $vgpr0_vgpr1
	s_branch .LBB8_1172
.LBB8_1158:
	s_mov_b64 s[8:9], 0
	s_mov_b64 s[4:5], 0
                                        ; implicit-def: $vgpr0_vgpr1
	s_cbranch_execnz .LBB8_1168
	s_branch .LBB8_1171
.LBB8_1159:
	s_mov_b64 s[10:11], -1
	s_mov_b64 s[8:9], 0
	s_mov_b64 s[4:5], 0
                                        ; implicit-def: $vgpr0_vgpr1
	s_branch .LBB8_1163
.LBB8_1160:
	s_or_saveexec_b64 s[10:11], s[10:11]
                                        ; implicit-def: $sgpr12
	s_xor_b64 exec, exec, s[10:11]
	s_cbranch_execz .LBB8_999
.LBB8_1161:
	s_mov_b32 s12, 0x46000000
	v_add_f32_e64 v3, |v2|, s12
	v_and_b32_e32 v3, 0xff, v3
	v_cmp_ne_u32_e32 vcc, 0, v3
	s_andn2_b64 s[8:9], s[8:9], exec
	s_and_b64 s[14:15], vcc, exec
	s_mov_b32 s12, 0
	s_or_b64 s[8:9], s[8:9], s[14:15]
	s_or_b64 exec, exec, s[10:11]
	v_mov_b32_e32 v7, s12
	s_and_saveexec_b64 s[10:11], s[8:9]
	s_cbranch_execnz .LBB8_1000
	s_branch .LBB8_1001
.LBB8_1162:
	s_mov_b64 s[4:5], -1
                                        ; implicit-def: $vgpr0_vgpr1
	s_mov_b64 s[8:9], 0
.LBB8_1163:
	s_and_b64 vcc, exec, s[10:11]
	s_cbranch_vccz .LBB8_1166
; %bb.1164:
	v_mov_b32_e32 v0, 44
	v_cmp_eq_u16_sdwa s[4:5], s17, v0 src0_sel:BYTE_0 src1_sel:DWORD
	s_and_b64 vcc, exec, s[4:5]
	s_cbranch_vccz .LBB8_1167
; %bb.1165:
	global_load_ubyte v3, v[8:9], off
	s_movk_i32 s8, 0xff
	v_bfrev_b32_e32 v5, 4
	v_mov_b32_e32 v7, 0x7ff80000
	v_bfrev_b32_e32 v10, 28
	s_mov_b64 s[4:5], 0
	s_waitcnt vmcnt(0)
	v_lshlrev_b32_e32 v0, 23, v3
	v_cvt_f64_f32_e32 v[0:1], v0
	v_cmp_ne_u32_e32 vcc, s8, v3
	v_cndmask_b32_e32 v0, v5, v0, vcc
	v_cndmask_b32_e32 v1, v7, v1, vcc
	v_cmp_ne_u32_e32 vcc, 0, v3
	v_cndmask_b32_e32 v1, v10, v1, vcc
	v_cndmask_b32_e32 v0, 0, v0, vcc
	s_mov_b64 s[8:9], -1
.LBB8_1166:
	s_branch .LBB8_1171
.LBB8_1167:
	s_mov_b64 s[4:5], -1
                                        ; implicit-def: $vgpr0_vgpr1
	s_branch .LBB8_1171
.LBB8_1168:
	v_mov_b32_e32 v0, 29
	v_cmp_eq_u16_sdwa s[4:5], s17, v0 src0_sel:BYTE_0 src1_sel:DWORD
	s_and_b64 vcc, exec, s[4:5]
	s_cbranch_vccz .LBB8_1170
; %bb.1169:
	global_load_dwordx2 v[0:1], v[8:9], off
	s_mov_b64 s[4:5], 0
	s_mov_b64 s[8:9], -1
	s_mov_b64 s[10:11], 0
	s_waitcnt vmcnt(0)
	v_cvt_f64_u32_e32 v[10:11], v1
	v_cvt_f64_u32_e32 v[0:1], v0
	v_ldexp_f64 v[10:11], v[10:11], 32
	v_add_f64 v[0:1], v[10:11], v[0:1]
	s_branch .LBB8_1172
.LBB8_1170:
	s_mov_b64 s[4:5], -1
                                        ; implicit-def: $vgpr0_vgpr1
.LBB8_1171:
	s_mov_b64 s[10:11], 0
.LBB8_1172:
	s_and_b64 vcc, exec, s[10:11]
	s_cbranch_vccz .LBB8_1190
; %bb.1173:
	v_mov_b32_e32 v0, 27
	v_cmp_lt_i16_sdwa s[8:9], s17, v0 src0_sel:BYTE_0 src1_sel:DWORD
	s_and_b64 vcc, exec, s[8:9]
	s_cbranch_vccnz .LBB8_1176
; %bb.1174:
	v_cmp_gt_i16_sdwa s[8:9], s17, v0 src0_sel:BYTE_0 src1_sel:DWORD
	s_and_b64 vcc, exec, s[8:9]
	s_cbranch_vccz .LBB8_1177
; %bb.1175:
	global_load_dword v0, v[8:9], off
	s_mov_b64 s[8:9], 0
	s_waitcnt vmcnt(0)
	v_cvt_f64_u32_e32 v[0:1], v0
	s_branch .LBB8_1178
.LBB8_1176:
	s_mov_b64 s[8:9], -1
                                        ; implicit-def: $vgpr0_vgpr1
	s_branch .LBB8_1181
.LBB8_1177:
	s_mov_b64 s[8:9], -1
                                        ; implicit-def: $vgpr0_vgpr1
.LBB8_1178:
	s_andn2_b64 vcc, exec, s[8:9]
	s_cbranch_vccnz .LBB8_1180
; %bb.1179:
	global_load_ushort v0, v[8:9], off
	s_waitcnt vmcnt(0)
	v_cvt_f64_u32_e32 v[0:1], v0
.LBB8_1180:
	s_mov_b64 s[8:9], 0
.LBB8_1181:
	s_andn2_b64 vcc, exec, s[8:9]
	s_cbranch_vccnz .LBB8_1189
; %bb.1182:
	global_load_ubyte v3, v[8:9], off
	s_movk_i32 s8, 0x7f
                                        ; implicit-def: $sgpr10_sgpr11
	s_waitcnt vmcnt(0)
	v_cmp_lt_i16_e32 vcc, s8, v3
	s_mov_b64 s[8:9], 0
	s_and_saveexec_b64 s[12:13], vcc
	s_xor_b64 s[12:13], exec, s[12:13]
	s_cbranch_execz .LBB8_1202
; %bb.1183:
	s_movk_i32 s8, 0x80
	v_cmp_eq_u16_e32 vcc, s8, v3
	s_mov_b64 s[14:15], -1
                                        ; implicit-def: $sgpr10_sgpr11
	s_and_saveexec_b64 s[8:9], vcc
; %bb.1184:
	s_mov_b32 s11, 0x7ff80000
	s_brev_b32 s10, 4
	s_xor_b64 s[14:15], exec, -1
; %bb.1185:
	s_or_b64 exec, exec, s[8:9]
	s_and_b64 s[8:9], s[14:15], exec
	s_or_saveexec_b64 s[12:13], s[12:13]
	v_pk_mov_b32 v[0:1], s[10:11], s[10:11] op_sel:[0,1]
	s_xor_b64 exec, exec, s[12:13]
	s_cbranch_execnz .LBB8_1203
.LBB8_1186:
	s_or_b64 exec, exec, s[12:13]
	s_and_saveexec_b64 s[10:11], s[8:9]
	s_cbranch_execz .LBB8_1188
.LBB8_1187:
	v_and_b32_e32 v1, 0xffff, v3
	v_lshlrev_b32_e32 v0, 24, v3
	v_and_b32_e32 v3, 7, v1
	v_ffbh_u32_e32 v7, v3
	v_min_u32_e32 v7, 32, v7
	v_subrev_u32_e32 v10, 28, v7
	v_bfe_u32 v5, v1, 3, 4
	v_lshlrev_b32_e32 v1, v10, v1
	v_sub_u32_e32 v7, 29, v7
	v_and_b32_e32 v1, 7, v1
	v_cmp_eq_u32_e32 vcc, 0, v5
	v_cndmask_b32_e32 v5, v5, v7, vcc
	v_cndmask_b32_e32 v1, v3, v1, vcc
	v_mov_b32_e32 v3, 0x3b800000
	v_lshlrev_b32_e32 v1, 20, v1
	v_and_b32_e32 v0, 0x80000000, v0
	v_lshl_add_u32 v3, v5, 23, v3
	v_or3_b32 v0, v0, v3, v1
	v_cvt_f64_f32_e32 v[0:1], v0
.LBB8_1188:
	s_or_b64 exec, exec, s[10:11]
.LBB8_1189:
	s_mov_b64 s[8:9], -1
.LBB8_1190:
	s_branch .LBB8_1222
.LBB8_1191:
	v_mov_b32_e32 v0, 22
	v_cmp_gt_i16_sdwa s[6:7], s17, v0 src0_sel:BYTE_0 src1_sel:DWORD
	s_and_b64 vcc, exec, s[6:7]
	s_cbranch_vccz .LBB8_1201
; %bb.1192:
	v_mov_b32_e32 v0, 24
	v_cmp_lt_i16_sdwa s[6:7], s17, v0 src0_sel:BYTE_0 src1_sel:DWORD
	s_and_b64 vcc, exec, s[6:7]
	s_cbranch_vccnz .LBB8_1204
; %bb.1193:
	v_cmp_gt_i16_sdwa s[6:7], s17, v0 src0_sel:BYTE_0 src1_sel:DWORD
	s_and_b64 vcc, exec, s[6:7]
	s_cbranch_vccz .LBB8_1205
; %bb.1194:
	global_load_ubyte v3, v[8:9], off
	s_movk_i32 s6, 0x7f
                                        ; implicit-def: $sgpr8_sgpr9
	s_waitcnt vmcnt(0)
	v_cmp_lt_i16_e32 vcc, s6, v3
	s_mov_b64 s[6:7], 0
	s_and_saveexec_b64 s[10:11], vcc
	s_xor_b64 s[10:11], exec, s[10:11]
	s_cbranch_execz .LBB8_1216
; %bb.1195:
	s_movk_i32 s6, 0x80
	v_cmp_eq_u16_e32 vcc, s6, v3
	s_mov_b64 s[12:13], -1
                                        ; implicit-def: $sgpr8_sgpr9
	s_and_saveexec_b64 s[6:7], vcc
; %bb.1196:
	s_mov_b32 s9, 0x7ff80000
	s_brev_b32 s8, 4
	s_xor_b64 s[12:13], exec, -1
; %bb.1197:
	s_or_b64 exec, exec, s[6:7]
	s_and_b64 s[6:7], s[12:13], exec
	s_or_saveexec_b64 s[10:11], s[10:11]
	v_pk_mov_b32 v[0:1], s[8:9], s[8:9] op_sel:[0,1]
	s_xor_b64 exec, exec, s[10:11]
	s_cbranch_execnz .LBB8_1217
.LBB8_1198:
	s_or_b64 exec, exec, s[10:11]
	s_and_saveexec_b64 s[8:9], s[6:7]
	s_cbranch_execz .LBB8_1200
.LBB8_1199:
	v_and_b32_e32 v1, 0xffff, v3
	v_lshlrev_b32_e32 v0, 24, v3
	v_and_b32_e32 v3, 3, v1
	v_ffbh_u32_e32 v7, v3
	v_min_u32_e32 v7, 32, v7
	v_subrev_u32_e32 v10, 29, v7
	v_bfe_u32 v5, v1, 2, 5
	v_lshlrev_b32_e32 v1, v10, v1
	v_sub_u32_e32 v7, 30, v7
	v_and_b32_e32 v1, 3, v1
	v_cmp_eq_u32_e32 vcc, 0, v5
	v_cndmask_b32_e32 v5, v5, v7, vcc
	v_cndmask_b32_e32 v1, v3, v1, vcc
	v_mov_b32_e32 v3, 0x37800000
	v_lshlrev_b32_e32 v1, 21, v1
	v_and_b32_e32 v0, 0x80000000, v0
	v_lshl_add_u32 v3, v5, 23, v3
	v_or3_b32 v0, v0, v3, v1
	v_cvt_f64_f32_e32 v[0:1], v0
.LBB8_1200:
	s_or_b64 exec, exec, s[8:9]
	s_mov_b64 s[6:7], 0
	s_branch .LBB8_1206
.LBB8_1201:
                                        ; implicit-def: $vgpr0_vgpr1
	s_mov_b64 s[6:7], 0
	s_branch .LBB8_1212
.LBB8_1202:
	s_or_saveexec_b64 s[12:13], s[12:13]
	v_pk_mov_b32 v[0:1], s[10:11], s[10:11] op_sel:[0,1]
	s_xor_b64 exec, exec, s[12:13]
	s_cbranch_execz .LBB8_1186
.LBB8_1203:
	v_cmp_ne_u16_e32 vcc, 0, v3
	s_andn2_b64 s[8:9], s[8:9], exec
	s_and_b64 s[10:11], vcc, exec
	v_pk_mov_b32 v[0:1], 0, 0
	s_or_b64 s[8:9], s[8:9], s[10:11]
	s_or_b64 exec, exec, s[12:13]
	s_and_saveexec_b64 s[10:11], s[8:9]
	s_cbranch_execnz .LBB8_1187
	s_branch .LBB8_1188
.LBB8_1204:
	s_mov_b64 s[6:7], -1
                                        ; implicit-def: $vgpr0_vgpr1
	s_branch .LBB8_1209
.LBB8_1205:
	s_mov_b64 s[6:7], -1
                                        ; implicit-def: $vgpr0_vgpr1
.LBB8_1206:
	s_and_b64 vcc, exec, s[6:7]
	s_cbranch_vccz .LBB8_1208
; %bb.1207:
	global_load_ubyte v0, v[8:9], off
	s_mov_b32 s6, 0x7f800000
	s_waitcnt vmcnt(0)
	v_lshlrev_b32_e32 v0, 24, v0
	v_and_b32_e32 v1, 0x7f000000, v0
	v_ffbh_u32_e32 v3, v1
	v_min_u32_e32 v3, 32, v3
	v_sub_u32_e64 v3, v3, 4 clamp
	v_lshlrev_b32_e32 v7, v3, v1
	v_lshlrev_b32_e32 v3, 23, v3
	v_lshrrev_b32_e32 v7, 4, v7
	v_add_u32_e32 v5, 0x1000000, v1
	v_sub_u32_e32 v3, v7, v3
	v_ashrrev_i32_e32 v5, 8, v5
	v_add_u32_e32 v3, 0x3c000000, v3
	v_and_or_b32 v3, v5, s6, v3
	v_cmp_ne_u32_e32 vcc, 0, v1
	v_cndmask_b32_e32 v1, 0, v3, vcc
	s_brev_b32 s6, 1
	v_and_or_b32 v0, v0, s6, v1
	v_cvt_f64_f32_e32 v[0:1], v0
.LBB8_1208:
	s_mov_b64 s[6:7], 0
.LBB8_1209:
	s_andn2_b64 vcc, exec, s[6:7]
	s_cbranch_vccnz .LBB8_1211
; %bb.1210:
	global_load_ubyte v0, v[8:9], off
	s_movk_i32 s6, 0x7f00
	s_brev_b32 s7, 16
	s_waitcnt vmcnt(0)
	v_lshlrev_b16_e32 v1, 8, v0
	v_lshlrev_b32_e32 v0, 25, v0
	v_lshrrev_b32_e32 v3, 4, v0
	v_and_or_b32 v5, v1, s6, 0.5
	v_or_b32_e32 v3, 0x70000000, v3
	v_add_f32_e32 v5, -0.5, v5
	v_mul_f32_e32 v3, 0x7800000, v3
	v_cmp_gt_u32_e32 vcc, s7, v0
	v_bfe_i32 v1, v1, 0, 16
	v_cndmask_b32_e32 v0, v3, v5, vcc
	s_brev_b32 s6, 1
	v_and_or_b32 v0, v1, s6, v0
	v_cvt_f64_f32_e32 v[0:1], v0
.LBB8_1211:
	s_mov_b64 s[8:9], -1
	s_mov_b64 s[6:7], 0
	s_cbranch_execnz .LBB8_1222
.LBB8_1212:
	v_mov_b32_e32 v0, 14
	v_cmp_gt_i16_sdwa s[6:7], s17, v0 src0_sel:BYTE_0 src1_sel:DWORD
	s_and_b64 vcc, exec, s[6:7]
	s_cbranch_vccz .LBB8_1215
; %bb.1213:
	v_mov_b32_e32 v0, 15
	v_cmp_eq_u16_sdwa s[4:5], s17, v0 src0_sel:BYTE_0 src1_sel:DWORD
	s_and_b64 vcc, exec, s[4:5]
	s_cbranch_vccz .LBB8_1218
; %bb.1214:
	global_load_ushort v0, v[8:9], off
	s_mov_b64 s[4:5], 0
	s_mov_b64 s[8:9], -1
	s_waitcnt vmcnt(0)
	v_lshlrev_b32_e32 v0, 16, v0
	v_cvt_f64_f32_e32 v[0:1], v0
	s_branch .LBB8_1219
.LBB8_1215:
	s_mov_b64 s[10:11], -1
                                        ; implicit-def: $vgpr0_vgpr1
	s_branch .LBB8_1220
.LBB8_1216:
	s_or_saveexec_b64 s[10:11], s[10:11]
	v_pk_mov_b32 v[0:1], s[8:9], s[8:9] op_sel:[0,1]
	s_xor_b64 exec, exec, s[10:11]
	s_cbranch_execz .LBB8_1198
.LBB8_1217:
	v_cmp_ne_u16_e32 vcc, 0, v3
	s_andn2_b64 s[6:7], s[6:7], exec
	s_and_b64 s[8:9], vcc, exec
	v_pk_mov_b32 v[0:1], 0, 0
	s_or_b64 s[6:7], s[6:7], s[8:9]
	s_or_b64 exec, exec, s[10:11]
	s_and_saveexec_b64 s[8:9], s[6:7]
	s_cbranch_execnz .LBB8_1199
	s_branch .LBB8_1200
.LBB8_1218:
	s_mov_b64 s[4:5], -1
                                        ; implicit-def: $vgpr0_vgpr1
.LBB8_1219:
	s_mov_b64 s[10:11], 0
.LBB8_1220:
	s_mov_b64 s[6:7], 0
	s_and_b64 vcc, exec, s[10:11]
	s_cbranch_vccz .LBB8_1222
; %bb.1221:
	v_mov_b32_e32 v0, 11
	v_cmp_ne_u16_sdwa s[4:5], s17, v0 src0_sel:BYTE_0 src1_sel:DWORD
	s_mov_b64 s[6:7], -1
                                        ; implicit-def: $vgpr0_vgpr1
.LBB8_1222:
	s_and_b64 vcc, exec, s[4:5]
	s_mov_b64 s[36:37], s[44:45]
	s_cbranch_vccnz .LBB8_1283
; %bb.1223:
	s_andn2_b64 vcc, exec, s[6:7]
	s_cbranch_vccnz .LBB8_1225
.LBB8_1224:
	global_load_ubyte v1, v[8:9], off
	v_mov_b32_e32 v3, 0x3ff00000
	v_mov_b32_e32 v0, 0
	s_mov_b64 s[8:9], -1
	s_waitcnt vmcnt(0)
	v_cmp_ne_u16_e32 vcc, 0, v1
	v_cndmask_b32_e32 v1, 0, v3, vcc
.LBB8_1225:
	s_branch .LBB8_1155
.LBB8_1226:
	v_mov_b32_e32 v0, 5
	v_cmp_lt_i16_sdwa s[4:5], s17, v0 src0_sel:BYTE_0 src1_sel:DWORD
	s_and_b64 vcc, exec, s[4:5]
	s_cbranch_vccnz .LBB8_1231
; %bb.1227:
	v_mov_b32_e32 v0, 8
	v_cmp_lt_i16_sdwa s[4:5], s17, v0 src0_sel:BYTE_0 src1_sel:DWORD
	s_and_b64 vcc, exec, s[4:5]
	s_cbranch_vccnz .LBB8_1232
; %bb.1228:
	;; [unrolled: 5-line block ×3, first 2 shown]
	v_cmp_gt_i16_sdwa s[4:5], s17, v0 src0_sel:BYTE_0 src1_sel:DWORD
	s_and_b64 vcc, exec, s[4:5]
	s_cbranch_vccz .LBB8_1234
; %bb.1230:
	global_load_dwordx2 v[0:1], v[8:9], off
	s_mov_b64 s[4:5], 0
	s_branch .LBB8_1235
.LBB8_1231:
                                        ; implicit-def: $vgpr0_vgpr1
	s_branch .LBB8_1252
.LBB8_1232:
                                        ; implicit-def: $vgpr0_vgpr1
	s_branch .LBB8_1241
.LBB8_1233:
	s_mov_b64 s[4:5], -1
                                        ; implicit-def: $vgpr0_vgpr1
	s_branch .LBB8_1238
.LBB8_1234:
	s_mov_b64 s[4:5], -1
                                        ; implicit-def: $vgpr0_vgpr1
.LBB8_1235:
	s_andn2_b64 vcc, exec, s[4:5]
	s_cbranch_vccnz .LBB8_1237
; %bb.1236:
	global_load_dword v0, v[8:9], off
	s_waitcnt vmcnt(0)
	v_cvt_f64_f32_e32 v[0:1], v0
.LBB8_1237:
	s_mov_b64 s[4:5], 0
.LBB8_1238:
	s_andn2_b64 vcc, exec, s[4:5]
	s_cbranch_vccnz .LBB8_1240
; %bb.1239:
	global_load_dword v0, v[8:9], off
	s_waitcnt vmcnt(0)
	v_cvt_f32_f16_e32 v0, v0
	v_cvt_f64_f32_e32 v[0:1], v0
.LBB8_1240:
	s_cbranch_execnz .LBB8_1251
.LBB8_1241:
	s_waitcnt vmcnt(0)
	v_mov_b32_e32 v0, 6
	v_cmp_lt_i16_sdwa s[4:5], s17, v0 src0_sel:BYTE_0 src1_sel:DWORD
	s_and_b64 vcc, exec, s[4:5]
	s_cbranch_vccnz .LBB8_1244
; %bb.1242:
	v_cmp_gt_i16_sdwa s[4:5], s17, v0 src0_sel:BYTE_0 src1_sel:DWORD
	s_and_b64 vcc, exec, s[4:5]
	s_cbranch_vccz .LBB8_1245
; %bb.1243:
	global_load_dwordx2 v[0:1], v[8:9], off
	s_mov_b64 s[4:5], 0
	s_branch .LBB8_1246
.LBB8_1244:
	s_mov_b64 s[4:5], -1
                                        ; implicit-def: $vgpr0_vgpr1
	s_branch .LBB8_1249
.LBB8_1245:
	s_mov_b64 s[4:5], -1
                                        ; implicit-def: $vgpr0_vgpr1
.LBB8_1246:
	s_andn2_b64 vcc, exec, s[4:5]
	s_cbranch_vccnz .LBB8_1248
; %bb.1247:
	global_load_dword v0, v[8:9], off
	s_waitcnt vmcnt(0)
	v_cvt_f64_f32_e32 v[0:1], v0
.LBB8_1248:
	s_mov_b64 s[4:5], 0
.LBB8_1249:
	s_andn2_b64 vcc, exec, s[4:5]
	s_cbranch_vccnz .LBB8_1251
; %bb.1250:
	global_load_ushort v0, v[8:9], off
	s_waitcnt vmcnt(0)
	v_cvt_f32_f16_e32 v0, v0
	v_cvt_f64_f32_e32 v[0:1], v0
.LBB8_1251:
	s_cbranch_execnz .LBB8_1270
.LBB8_1252:
	s_waitcnt vmcnt(0)
	v_mov_b32_e32 v0, 2
	v_cmp_lt_i16_sdwa s[4:5], s17, v0 src0_sel:BYTE_0 src1_sel:DWORD
	s_and_b64 vcc, exec, s[4:5]
	s_cbranch_vccnz .LBB8_1256
; %bb.1253:
	v_mov_b32_e32 v0, 3
	v_cmp_lt_i16_sdwa s[4:5], s17, v0 src0_sel:BYTE_0 src1_sel:DWORD
	s_and_b64 vcc, exec, s[4:5]
	s_cbranch_vccnz .LBB8_1257
; %bb.1254:
	v_cmp_gt_i16_sdwa s[4:5], s17, v0 src0_sel:BYTE_0 src1_sel:DWORD
	s_and_b64 vcc, exec, s[4:5]
	s_cbranch_vccz .LBB8_1258
; %bb.1255:
	global_load_dwordx2 v[0:1], v[8:9], off
	s_mov_b64 s[4:5], 0
	s_waitcnt vmcnt(0)
	v_cvt_f64_i32_e32 v[10:11], v1
	v_cvt_f64_u32_e32 v[0:1], v0
	v_ldexp_f64 v[10:11], v[10:11], 32
	v_add_f64 v[0:1], v[10:11], v[0:1]
	s_branch .LBB8_1259
.LBB8_1256:
                                        ; implicit-def: $vgpr0_vgpr1
	s_branch .LBB8_1265
.LBB8_1257:
	s_mov_b64 s[4:5], -1
                                        ; implicit-def: $vgpr0_vgpr1
	s_branch .LBB8_1262
.LBB8_1258:
	s_mov_b64 s[4:5], -1
                                        ; implicit-def: $vgpr0_vgpr1
.LBB8_1259:
	s_andn2_b64 vcc, exec, s[4:5]
	s_cbranch_vccnz .LBB8_1261
; %bb.1260:
	global_load_dword v0, v[8:9], off
	s_waitcnt vmcnt(0)
	v_cvt_f64_i32_e32 v[0:1], v0
.LBB8_1261:
	s_mov_b64 s[4:5], 0
.LBB8_1262:
	s_andn2_b64 vcc, exec, s[4:5]
	s_cbranch_vccnz .LBB8_1264
; %bb.1263:
	global_load_sshort v0, v[8:9], off
	s_waitcnt vmcnt(0)
	v_cvt_f64_i32_e32 v[0:1], v0
.LBB8_1264:
	s_cbranch_execnz .LBB8_1270
.LBB8_1265:
	v_mov_b32_e32 v0, 0
	v_cmp_gt_i16_sdwa s[4:5], s17, v0 src0_sel:BYTE_0 src1_sel:DWORD
	s_and_b64 vcc, exec, s[4:5]
	s_cbranch_vccz .LBB8_1267
; %bb.1266:
	global_load_sbyte v0, v[8:9], off
	s_mov_b64 s[4:5], 0
	s_waitcnt vmcnt(0)
	v_cvt_f64_i32_e32 v[0:1], v0
	s_branch .LBB8_1268
.LBB8_1267:
	s_mov_b64 s[4:5], -1
                                        ; implicit-def: $vgpr0_vgpr1
.LBB8_1268:
	s_andn2_b64 vcc, exec, s[4:5]
	s_cbranch_vccnz .LBB8_1270
; %bb.1269:
	global_load_ubyte v0, v[8:9], off
	s_waitcnt vmcnt(0)
	v_cvt_f64_u32_e32 v[0:1], v0
.LBB8_1270:
.LBB8_1271:
	v_mov_b32_e32 v3, s43
	v_add_co_u32_e32 v6, vcc, s42, v6
	v_addc_co_u32_e32 v7, vcc, 0, v3, vcc
	v_mov_b32_e32 v3, 11
	v_cmp_lt_i16_sdwa s[4:5], s17, v3 src0_sel:BYTE_0 src1_sel:DWORD
	s_and_b64 vcc, exec, s[4:5]
	s_cbranch_vccnz .LBB8_1278
; %bb.1272:
	v_mov_b32_e32 v3, 25
	v_cmp_gt_i16_sdwa s[4:5], s17, v3 src0_sel:BYTE_0 src1_sel:DWORD
	s_mov_b64 s[6:7], 0
	s_and_b64 vcc, exec, s[4:5]
	s_cbranch_vccz .LBB8_1280
; %bb.1273:
	v_mov_b32_e32 v3, 28
	v_cmp_gt_i16_sdwa s[4:5], s17, v3 src0_sel:BYTE_0 src1_sel:DWORD
	s_and_b64 vcc, exec, s[4:5]
	s_cbranch_vccz .LBB8_1281
; %bb.1274:
	v_mov_b32_e32 v3, 43
	v_cmp_gt_i16_sdwa s[4:5], s17, v3 src0_sel:BYTE_0 src1_sel:DWORD
	;; [unrolled: 5-line block ×3, first 2 shown]
	s_and_b64 vcc, exec, s[4:5]
	s_cbranch_vccz .LBB8_1284
; %bb.1276:
	v_mov_b32_e32 v3, 46
	v_cmp_eq_u16_sdwa s[4:5], s17, v3 src0_sel:BYTE_0 src1_sel:DWORD
	s_mov_b64 s[10:11], 0
	s_and_b64 vcc, exec, s[4:5]
	s_cbranch_vccz .LBB8_1287
; %bb.1277:
	global_load_dword v3, v[6:7], off
	s_mov_b64 s[4:5], 0
	s_mov_b64 s[8:9], -1
	s_waitcnt vmcnt(0)
	v_lshlrev_b32_e32 v3, 16, v3
	v_cvt_f64_f32_e32 v[42:43], v3
	s_branch .LBB8_1288
.LBB8_1278:
	s_mov_b64 s[8:9], 0
                                        ; implicit-def: $vgpr42_vgpr43
	s_cbranch_execnz .LBB8_1353
.LBB8_1279:
	s_andn2_b64 vcc, exec, s[8:9]
	s_cbranch_vccnz .LBB8_2112
	s_branch .LBB8_1400
.LBB8_1280:
	s_mov_b64 s[8:9], 0
	s_mov_b64 s[4:5], 0
                                        ; implicit-def: $vgpr42_vgpr43
	s_cbranch_execnz .LBB8_1317
	s_branch .LBB8_1349
.LBB8_1281:
	s_mov_b64 s[10:11], -1
	s_mov_b64 s[8:9], 0
	s_mov_b64 s[4:5], 0
                                        ; implicit-def: $vgpr42_vgpr43
	s_branch .LBB8_1298
.LBB8_1282:
	s_mov_b64 s[10:11], -1
	s_mov_b64 s[8:9], 0
	s_mov_b64 s[4:5], 0
                                        ; implicit-def: $vgpr42_vgpr43
	s_branch .LBB8_1293
.LBB8_1283:
	s_or_b64 s[36:37], s[44:45], exec
	s_trap 2
                                        ; implicit-def: $vgpr0_vgpr1
	s_cbranch_execz .LBB8_1224
	s_branch .LBB8_1225
.LBB8_1284:
	s_mov_b64 s[10:11], -1
	s_mov_b64 s[8:9], 0
	s_mov_b64 s[4:5], 0
                                        ; implicit-def: $vgpr42_vgpr43
	s_branch .LBB8_1288
.LBB8_1285:
	s_or_saveexec_b64 s[12:13], s[12:13]
                                        ; implicit-def: $sgpr14
	s_xor_b64 exec, exec, s[12:13]
	s_cbranch_execz .LBB8_1011
.LBB8_1286:
	s_mov_b32 s14, 0x42800000
	v_add_f32_e64 v3, |v2|, s14
	v_and_b32_e32 v3, 0xff, v3
	v_cmp_ne_u32_e32 vcc, 0, v3
	s_andn2_b64 s[10:11], s[10:11], exec
	s_and_b64 s[16:17], vcc, exec
	s_mov_b32 s14, 0
	s_or_b64 s[10:11], s[10:11], s[16:17]
	s_or_b64 exec, exec, s[12:13]
	v_mov_b32_e32 v7, s14
	s_and_saveexec_b64 s[12:13], s[10:11]
	s_cbranch_execnz .LBB8_1012
	s_branch .LBB8_1013
.LBB8_1287:
	s_mov_b64 s[4:5], -1
                                        ; implicit-def: $vgpr42_vgpr43
	s_mov_b64 s[8:9], 0
.LBB8_1288:
	s_and_b64 vcc, exec, s[10:11]
	s_cbranch_vccz .LBB8_1292
; %bb.1289:
	v_mov_b32_e32 v3, 44
	v_cmp_eq_u16_sdwa s[4:5], s17, v3 src0_sel:BYTE_0 src1_sel:DWORD
	s_and_b64 vcc, exec, s[4:5]
	s_cbranch_vccz .LBB8_1291
; %bb.1290:
	global_load_ubyte v3, v[6:7], off
	s_movk_i32 s8, 0xff
	v_bfrev_b32_e32 v5, 4
	v_mov_b32_e32 v10, 0x7ff80000
	v_bfrev_b32_e32 v11, 28
	s_mov_b64 s[4:5], 0
	s_waitcnt vmcnt(0)
	v_lshlrev_b32_e32 v8, 23, v3
	v_cvt_f64_f32_e32 v[8:9], v8
	v_cmp_ne_u32_e32 vcc, s8, v3
	v_cndmask_b32_e32 v5, v5, v8, vcc
	v_cndmask_b32_e32 v8, v10, v9, vcc
	v_cmp_ne_u32_e32 vcc, 0, v3
	v_cndmask_b32_e32 v43, v11, v8, vcc
	v_cndmask_b32_e32 v42, 0, v5, vcc
	s_mov_b64 s[8:9], -1
	s_branch .LBB8_1292
.LBB8_1291:
	s_mov_b64 s[4:5], -1
                                        ; implicit-def: $vgpr42_vgpr43
.LBB8_1292:
	s_mov_b64 s[10:11], 0
.LBB8_1293:
	s_and_b64 vcc, exec, s[10:11]
	s_cbranch_vccz .LBB8_1297
; %bb.1294:
	v_mov_b32_e32 v3, 29
	v_cmp_eq_u16_sdwa s[4:5], s17, v3 src0_sel:BYTE_0 src1_sel:DWORD
	s_and_b64 vcc, exec, s[4:5]
	s_cbranch_vccz .LBB8_1296
; %bb.1295:
	global_load_dwordx2 v[8:9], v[6:7], off
	s_mov_b64 s[4:5], 0
	s_mov_b64 s[8:9], -1
	s_mov_b64 s[10:11], 0
	s_waitcnt vmcnt(0)
	v_cvt_f64_u32_e32 v[10:11], v9
	v_cvt_f64_u32_e32 v[8:9], v8
	v_ldexp_f64 v[10:11], v[10:11], 32
	v_add_f64 v[42:43], v[10:11], v[8:9]
	s_branch .LBB8_1298
.LBB8_1296:
	s_mov_b64 s[4:5], -1
                                        ; implicit-def: $vgpr42_vgpr43
.LBB8_1297:
	s_mov_b64 s[10:11], 0
.LBB8_1298:
	s_and_b64 vcc, exec, s[10:11]
	s_cbranch_vccz .LBB8_1316
; %bb.1299:
	v_mov_b32_e32 v3, 27
	v_cmp_lt_i16_sdwa s[8:9], s17, v3 src0_sel:BYTE_0 src1_sel:DWORD
	s_and_b64 vcc, exec, s[8:9]
	s_cbranch_vccnz .LBB8_1302
; %bb.1300:
	v_cmp_gt_i16_sdwa s[8:9], s17, v3 src0_sel:BYTE_0 src1_sel:DWORD
	s_and_b64 vcc, exec, s[8:9]
	s_cbranch_vccz .LBB8_1303
; %bb.1301:
	global_load_dword v3, v[6:7], off
	s_mov_b64 s[8:9], 0
	s_waitcnt vmcnt(0)
	v_cvt_f64_u32_e32 v[42:43], v3
	s_branch .LBB8_1304
.LBB8_1302:
	s_mov_b64 s[8:9], -1
                                        ; implicit-def: $vgpr42_vgpr43
	s_branch .LBB8_1307
.LBB8_1303:
	s_mov_b64 s[8:9], -1
                                        ; implicit-def: $vgpr42_vgpr43
.LBB8_1304:
	s_andn2_b64 vcc, exec, s[8:9]
	s_cbranch_vccnz .LBB8_1306
; %bb.1305:
	global_load_ushort v3, v[6:7], off
	s_waitcnt vmcnt(0)
	v_cvt_f64_u32_e32 v[42:43], v3
.LBB8_1306:
	s_mov_b64 s[8:9], 0
.LBB8_1307:
	s_andn2_b64 vcc, exec, s[8:9]
	s_cbranch_vccnz .LBB8_1315
; %bb.1308:
	global_load_ubyte v3, v[6:7], off
	s_movk_i32 s8, 0x7f
                                        ; implicit-def: $sgpr10_sgpr11
	s_waitcnt vmcnt(0)
	v_cmp_lt_i16_e32 vcc, s8, v3
	s_mov_b64 s[8:9], 0
	s_and_saveexec_b64 s[12:13], vcc
	s_xor_b64 s[12:13], exec, s[12:13]
	s_cbranch_execz .LBB8_1328
; %bb.1309:
	s_movk_i32 s8, 0x80
	v_cmp_eq_u16_e32 vcc, s8, v3
	s_mov_b64 s[14:15], -1
                                        ; implicit-def: $sgpr10_sgpr11
	s_and_saveexec_b64 s[8:9], vcc
; %bb.1310:
	s_mov_b32 s11, 0x7ff80000
	s_brev_b32 s10, 4
	s_xor_b64 s[14:15], exec, -1
; %bb.1311:
	s_or_b64 exec, exec, s[8:9]
	s_and_b64 s[8:9], s[14:15], exec
	s_or_saveexec_b64 s[12:13], s[12:13]
	v_pk_mov_b32 v[42:43], s[10:11], s[10:11] op_sel:[0,1]
	s_xor_b64 exec, exec, s[12:13]
	s_cbranch_execnz .LBB8_1329
.LBB8_1312:
	s_or_b64 exec, exec, s[12:13]
	s_and_saveexec_b64 s[10:11], s[8:9]
	s_cbranch_execz .LBB8_1314
.LBB8_1313:
	v_lshlrev_b32_e32 v5, 24, v3
	v_and_b32_e32 v3, 0xffff, v3
	v_and_b32_e32 v8, 7, v3
	v_ffbh_u32_e32 v10, v8
	v_min_u32_e32 v10, 32, v10
	v_subrev_u32_e32 v11, 28, v10
	v_bfe_u32 v9, v3, 3, 4
	v_lshlrev_b32_e32 v3, v11, v3
	v_sub_u32_e32 v10, 29, v10
	v_and_b32_e32 v3, 7, v3
	v_cmp_eq_u32_e32 vcc, 0, v9
	v_cndmask_b32_e32 v9, v9, v10, vcc
	v_cndmask_b32_e32 v3, v8, v3, vcc
	v_mov_b32_e32 v8, 0x3b800000
	v_lshlrev_b32_e32 v3, 20, v3
	v_and_b32_e32 v5, 0x80000000, v5
	v_lshl_add_u32 v8, v9, 23, v8
	v_or3_b32 v3, v5, v8, v3
	v_cvt_f64_f32_e32 v[42:43], v3
.LBB8_1314:
	s_or_b64 exec, exec, s[10:11]
.LBB8_1315:
	s_mov_b64 s[8:9], -1
.LBB8_1316:
	s_branch .LBB8_1349
.LBB8_1317:
	v_mov_b32_e32 v3, 22
	v_cmp_gt_i16_sdwa s[6:7], s17, v3 src0_sel:BYTE_0 src1_sel:DWORD
	s_and_b64 vcc, exec, s[6:7]
	s_cbranch_vccz .LBB8_1327
; %bb.1318:
	v_mov_b32_e32 v3, 24
	v_cmp_lt_i16_sdwa s[6:7], s17, v3 src0_sel:BYTE_0 src1_sel:DWORD
	s_and_b64 vcc, exec, s[6:7]
	s_cbranch_vccnz .LBB8_1330
; %bb.1319:
	v_cmp_gt_i16_sdwa s[6:7], s17, v3 src0_sel:BYTE_0 src1_sel:DWORD
	s_and_b64 vcc, exec, s[6:7]
	s_cbranch_vccz .LBB8_1331
; %bb.1320:
	global_load_ubyte v3, v[6:7], off
	s_movk_i32 s6, 0x7f
                                        ; implicit-def: $sgpr8_sgpr9
	s_waitcnt vmcnt(0)
	v_cmp_lt_i16_e32 vcc, s6, v3
	s_mov_b64 s[6:7], 0
	s_and_saveexec_b64 s[10:11], vcc
	s_xor_b64 s[10:11], exec, s[10:11]
	s_cbranch_execz .LBB8_1343
; %bb.1321:
	s_movk_i32 s6, 0x80
	v_cmp_eq_u16_e32 vcc, s6, v3
	s_mov_b64 s[12:13], -1
                                        ; implicit-def: $sgpr8_sgpr9
	s_and_saveexec_b64 s[6:7], vcc
; %bb.1322:
	s_mov_b32 s9, 0x7ff80000
	s_brev_b32 s8, 4
	s_xor_b64 s[12:13], exec, -1
; %bb.1323:
	s_or_b64 exec, exec, s[6:7]
	s_and_b64 s[6:7], s[12:13], exec
	s_or_saveexec_b64 s[10:11], s[10:11]
	v_pk_mov_b32 v[42:43], s[8:9], s[8:9] op_sel:[0,1]
	s_xor_b64 exec, exec, s[10:11]
	s_cbranch_execnz .LBB8_1344
.LBB8_1324:
	s_or_b64 exec, exec, s[10:11]
	s_and_saveexec_b64 s[8:9], s[6:7]
	s_cbranch_execz .LBB8_1326
.LBB8_1325:
	v_lshlrev_b32_e32 v5, 24, v3
	v_and_b32_e32 v3, 0xffff, v3
	v_and_b32_e32 v8, 3, v3
	v_ffbh_u32_e32 v10, v8
	v_min_u32_e32 v10, 32, v10
	v_subrev_u32_e32 v11, 29, v10
	v_bfe_u32 v9, v3, 2, 5
	v_lshlrev_b32_e32 v3, v11, v3
	v_sub_u32_e32 v10, 30, v10
	v_and_b32_e32 v3, 3, v3
	v_cmp_eq_u32_e32 vcc, 0, v9
	v_cndmask_b32_e32 v9, v9, v10, vcc
	v_cndmask_b32_e32 v3, v8, v3, vcc
	v_mov_b32_e32 v8, 0x37800000
	v_lshlrev_b32_e32 v3, 21, v3
	v_and_b32_e32 v5, 0x80000000, v5
	v_lshl_add_u32 v8, v9, 23, v8
	v_or3_b32 v3, v5, v8, v3
	v_cvt_f64_f32_e32 v[42:43], v3
.LBB8_1326:
	s_or_b64 exec, exec, s[8:9]
	s_mov_b64 s[6:7], 0
	s_branch .LBB8_1332
.LBB8_1327:
	s_mov_b64 s[6:7], -1
                                        ; implicit-def: $vgpr42_vgpr43
	s_branch .LBB8_1338
.LBB8_1328:
	s_or_saveexec_b64 s[12:13], s[12:13]
	v_pk_mov_b32 v[42:43], s[10:11], s[10:11] op_sel:[0,1]
	s_xor_b64 exec, exec, s[12:13]
	s_cbranch_execz .LBB8_1312
.LBB8_1329:
	v_cmp_ne_u16_e32 vcc, 0, v3
	s_andn2_b64 s[8:9], s[8:9], exec
	s_and_b64 s[10:11], vcc, exec
	v_pk_mov_b32 v[42:43], 0, 0
	s_or_b64 s[8:9], s[8:9], s[10:11]
	s_or_b64 exec, exec, s[12:13]
	s_and_saveexec_b64 s[10:11], s[8:9]
	s_cbranch_execnz .LBB8_1313
	s_branch .LBB8_1314
.LBB8_1330:
	s_mov_b64 s[6:7], -1
                                        ; implicit-def: $vgpr42_vgpr43
	s_branch .LBB8_1335
.LBB8_1331:
	s_mov_b64 s[6:7], -1
                                        ; implicit-def: $vgpr42_vgpr43
.LBB8_1332:
	s_and_b64 vcc, exec, s[6:7]
	s_cbranch_vccz .LBB8_1334
; %bb.1333:
	global_load_ubyte v3, v[6:7], off
	s_mov_b32 s6, 0x7f800000
	s_waitcnt vmcnt(0)
	v_lshlrev_b32_e32 v3, 24, v3
	v_and_b32_e32 v5, 0x7f000000, v3
	v_ffbh_u32_e32 v8, v5
	v_min_u32_e32 v8, 32, v8
	v_sub_u32_e64 v8, v8, 4 clamp
	v_lshlrev_b32_e32 v10, v8, v5
	v_lshlrev_b32_e32 v8, 23, v8
	v_lshrrev_b32_e32 v10, 4, v10
	v_add_u32_e32 v9, 0x1000000, v5
	v_sub_u32_e32 v8, v10, v8
	v_ashrrev_i32_e32 v9, 8, v9
	v_add_u32_e32 v8, 0x3c000000, v8
	v_and_or_b32 v8, v9, s6, v8
	v_cmp_ne_u32_e32 vcc, 0, v5
	v_cndmask_b32_e32 v5, 0, v8, vcc
	s_brev_b32 s6, 1
	v_and_or_b32 v3, v3, s6, v5
	v_cvt_f64_f32_e32 v[42:43], v3
.LBB8_1334:
	s_mov_b64 s[6:7], 0
.LBB8_1335:
	s_andn2_b64 vcc, exec, s[6:7]
	s_cbranch_vccnz .LBB8_1337
; %bb.1336:
	global_load_ubyte v3, v[6:7], off
	s_movk_i32 s6, 0x7f00
	s_brev_b32 s7, 16
	s_waitcnt vmcnt(0)
	v_lshlrev_b16_e32 v5, 8, v3
	v_lshlrev_b32_e32 v3, 25, v3
	v_lshrrev_b32_e32 v8, 4, v3
	v_and_or_b32 v9, v5, s6, 0.5
	v_or_b32_e32 v8, 0x70000000, v8
	v_add_f32_e32 v9, -0.5, v9
	v_mul_f32_e32 v8, 0x7800000, v8
	v_cmp_gt_u32_e32 vcc, s7, v3
	v_bfe_i32 v5, v5, 0, 16
	v_cndmask_b32_e32 v3, v8, v9, vcc
	s_brev_b32 s6, 1
	v_and_or_b32 v3, v5, s6, v3
	v_cvt_f64_f32_e32 v[42:43], v3
.LBB8_1337:
	s_mov_b64 s[6:7], 0
	s_mov_b64 s[8:9], -1
.LBB8_1338:
	s_andn2_b64 vcc, exec, s[6:7]
	s_mov_b64 s[6:7], 0
	s_cbranch_vccnz .LBB8_1349
; %bb.1339:
	v_mov_b32_e32 v3, 14
	v_cmp_gt_i16_sdwa s[6:7], s17, v3 src0_sel:BYTE_0 src1_sel:DWORD
	s_and_b64 vcc, exec, s[6:7]
	s_cbranch_vccz .LBB8_1342
; %bb.1340:
	v_mov_b32_e32 v3, 15
	v_cmp_eq_u16_sdwa s[4:5], s17, v3 src0_sel:BYTE_0 src1_sel:DWORD
	s_and_b64 vcc, exec, s[4:5]
	s_cbranch_vccz .LBB8_1345
; %bb.1341:
	global_load_ushort v3, v[6:7], off
	s_mov_b64 s[4:5], 0
	s_mov_b64 s[8:9], -1
	s_waitcnt vmcnt(0)
	v_lshlrev_b32_e32 v3, 16, v3
	v_cvt_f64_f32_e32 v[42:43], v3
	s_branch .LBB8_1346
.LBB8_1342:
	s_mov_b64 s[10:11], -1
                                        ; implicit-def: $vgpr42_vgpr43
	s_branch .LBB8_1347
.LBB8_1343:
	s_or_saveexec_b64 s[10:11], s[10:11]
	v_pk_mov_b32 v[42:43], s[8:9], s[8:9] op_sel:[0,1]
	s_xor_b64 exec, exec, s[10:11]
	s_cbranch_execz .LBB8_1324
.LBB8_1344:
	v_cmp_ne_u16_e32 vcc, 0, v3
	s_andn2_b64 s[6:7], s[6:7], exec
	s_and_b64 s[8:9], vcc, exec
	v_pk_mov_b32 v[42:43], 0, 0
	s_or_b64 s[6:7], s[6:7], s[8:9]
	s_or_b64 exec, exec, s[10:11]
	s_and_saveexec_b64 s[8:9], s[6:7]
	s_cbranch_execnz .LBB8_1325
	s_branch .LBB8_1326
.LBB8_1345:
	s_mov_b64 s[4:5], -1
                                        ; implicit-def: $vgpr42_vgpr43
.LBB8_1346:
	s_mov_b64 s[10:11], 0
.LBB8_1347:
	s_mov_b64 s[6:7], 0
	s_and_b64 vcc, exec, s[10:11]
	s_cbranch_vccz .LBB8_1349
; %bb.1348:
	v_mov_b32_e32 v3, 11
	v_cmp_ne_u16_sdwa s[4:5], s17, v3 src0_sel:BYTE_0 src1_sel:DWORD
	s_mov_b64 s[6:7], -1
                                        ; implicit-def: $vgpr42_vgpr43
.LBB8_1349:
	s_and_b64 vcc, exec, s[4:5]
	s_cbranch_vccnz .LBB8_1412
; %bb.1350:
	s_andn2_b64 vcc, exec, s[6:7]
	s_cbranch_vccnz .LBB8_1352
.LBB8_1351:
	global_load_ubyte v3, v[6:7], off
	v_mov_b32_e32 v5, 0x3ff00000
	v_mov_b32_e32 v42, 0
	s_mov_b64 s[8:9], -1
	s_waitcnt vmcnt(0)
	v_cmp_ne_u16_e32 vcc, 0, v3
	v_cndmask_b32_e32 v43, 0, v5, vcc
.LBB8_1352:
	s_branch .LBB8_1279
.LBB8_1353:
	v_mov_b32_e32 v3, 5
	v_cmp_lt_i16_sdwa s[4:5], s17, v3 src0_sel:BYTE_0 src1_sel:DWORD
	s_and_b64 vcc, exec, s[4:5]
	s_cbranch_vccnz .LBB8_1358
; %bb.1354:
	v_mov_b32_e32 v3, 8
	v_cmp_lt_i16_sdwa s[4:5], s17, v3 src0_sel:BYTE_0 src1_sel:DWORD
	s_and_b64 vcc, exec, s[4:5]
	s_cbranch_vccnz .LBB8_1359
; %bb.1355:
	;; [unrolled: 5-line block ×3, first 2 shown]
	v_cmp_gt_i16_sdwa s[4:5], s17, v3 src0_sel:BYTE_0 src1_sel:DWORD
	s_and_b64 vcc, exec, s[4:5]
	s_cbranch_vccz .LBB8_1361
; %bb.1357:
	global_load_dwordx2 v[42:43], v[6:7], off
	s_mov_b64 s[4:5], 0
	s_branch .LBB8_1362
.LBB8_1358:
                                        ; implicit-def: $vgpr42_vgpr43
	s_branch .LBB8_1380
.LBB8_1359:
	s_mov_b64 s[4:5], -1
                                        ; implicit-def: $vgpr42_vgpr43
	s_branch .LBB8_1368
.LBB8_1360:
	s_mov_b64 s[4:5], -1
                                        ; implicit-def: $vgpr42_vgpr43
	s_branch .LBB8_1365
.LBB8_1361:
	s_mov_b64 s[4:5], -1
                                        ; implicit-def: $vgpr42_vgpr43
.LBB8_1362:
	s_andn2_b64 vcc, exec, s[4:5]
	s_cbranch_vccnz .LBB8_1364
; %bb.1363:
	global_load_dword v3, v[6:7], off
	s_waitcnt vmcnt(0)
	v_cvt_f64_f32_e32 v[42:43], v3
.LBB8_1364:
	s_mov_b64 s[4:5], 0
.LBB8_1365:
	s_andn2_b64 vcc, exec, s[4:5]
	s_cbranch_vccnz .LBB8_1367
; %bb.1366:
	global_load_dword v3, v[6:7], off
	s_waitcnt vmcnt(0)
	v_cvt_f32_f16_e32 v3, v3
	v_cvt_f64_f32_e32 v[42:43], v3
.LBB8_1367:
	s_mov_b64 s[4:5], 0
.LBB8_1368:
	s_andn2_b64 vcc, exec, s[4:5]
	s_cbranch_vccnz .LBB8_1379
; %bb.1369:
	v_mov_b32_e32 v3, 6
	v_cmp_lt_i16_sdwa s[4:5], s17, v3 src0_sel:BYTE_0 src1_sel:DWORD
	s_and_b64 vcc, exec, s[4:5]
	s_cbranch_vccnz .LBB8_1372
; %bb.1370:
	v_cmp_gt_i16_sdwa s[4:5], s17, v3 src0_sel:BYTE_0 src1_sel:DWORD
	s_and_b64 vcc, exec, s[4:5]
	s_cbranch_vccz .LBB8_1373
; %bb.1371:
	global_load_dwordx2 v[42:43], v[6:7], off
	s_mov_b64 s[4:5], 0
	s_branch .LBB8_1374
.LBB8_1372:
	s_mov_b64 s[4:5], -1
                                        ; implicit-def: $vgpr42_vgpr43
	s_branch .LBB8_1377
.LBB8_1373:
	s_mov_b64 s[4:5], -1
                                        ; implicit-def: $vgpr42_vgpr43
.LBB8_1374:
	s_andn2_b64 vcc, exec, s[4:5]
	s_cbranch_vccnz .LBB8_1376
; %bb.1375:
	global_load_dword v3, v[6:7], off
	s_waitcnt vmcnt(0)
	v_cvt_f64_f32_e32 v[42:43], v3
.LBB8_1376:
	s_mov_b64 s[4:5], 0
.LBB8_1377:
	s_andn2_b64 vcc, exec, s[4:5]
	s_cbranch_vccnz .LBB8_1379
; %bb.1378:
	global_load_ushort v3, v[6:7], off
	s_waitcnt vmcnt(0)
	v_cvt_f32_f16_e32 v3, v3
	v_cvt_f64_f32_e32 v[42:43], v3
.LBB8_1379:
	s_cbranch_execnz .LBB8_1399
.LBB8_1380:
	v_mov_b32_e32 v3, 2
	v_cmp_lt_i16_sdwa s[4:5], s17, v3 src0_sel:BYTE_0 src1_sel:DWORD
	s_and_b64 vcc, exec, s[4:5]
	s_cbranch_vccnz .LBB8_1384
; %bb.1381:
	v_mov_b32_e32 v3, 3
	v_cmp_lt_i16_sdwa s[4:5], s17, v3 src0_sel:BYTE_0 src1_sel:DWORD
	s_and_b64 vcc, exec, s[4:5]
	s_cbranch_vccnz .LBB8_1385
; %bb.1382:
	v_cmp_gt_i16_sdwa s[4:5], s17, v3 src0_sel:BYTE_0 src1_sel:DWORD
	s_and_b64 vcc, exec, s[4:5]
	s_cbranch_vccz .LBB8_1386
; %bb.1383:
	global_load_dwordx2 v[8:9], v[6:7], off
	s_mov_b64 s[4:5], 0
	s_waitcnt vmcnt(0)
	v_cvt_f64_i32_e32 v[10:11], v9
	v_cvt_f64_u32_e32 v[8:9], v8
	v_ldexp_f64 v[10:11], v[10:11], 32
	v_add_f64 v[42:43], v[10:11], v[8:9]
	s_branch .LBB8_1387
.LBB8_1384:
	s_mov_b64 s[4:5], -1
                                        ; implicit-def: $vgpr42_vgpr43
	s_branch .LBB8_1393
.LBB8_1385:
	s_mov_b64 s[4:5], -1
                                        ; implicit-def: $vgpr42_vgpr43
	s_branch .LBB8_1390
.LBB8_1386:
	s_mov_b64 s[4:5], -1
                                        ; implicit-def: $vgpr42_vgpr43
.LBB8_1387:
	s_andn2_b64 vcc, exec, s[4:5]
	s_cbranch_vccnz .LBB8_1389
; %bb.1388:
	global_load_dword v3, v[6:7], off
	s_waitcnt vmcnt(0)
	v_cvt_f64_i32_e32 v[42:43], v3
.LBB8_1389:
	s_mov_b64 s[4:5], 0
.LBB8_1390:
	s_andn2_b64 vcc, exec, s[4:5]
	s_cbranch_vccnz .LBB8_1392
; %bb.1391:
	global_load_sshort v3, v[6:7], off
	s_waitcnt vmcnt(0)
	v_cvt_f64_i32_e32 v[42:43], v3
.LBB8_1392:
	s_mov_b64 s[4:5], 0
.LBB8_1393:
	s_andn2_b64 vcc, exec, s[4:5]
	s_cbranch_vccnz .LBB8_1399
; %bb.1394:
	v_mov_b32_e32 v3, 0
	v_cmp_gt_i16_sdwa s[4:5], s17, v3 src0_sel:BYTE_0 src1_sel:DWORD
	s_and_b64 vcc, exec, s[4:5]
	s_cbranch_vccz .LBB8_1396
; %bb.1395:
	global_load_sbyte v3, v[6:7], off
	s_mov_b64 s[4:5], 0
	s_waitcnt vmcnt(0)
	v_cvt_f64_i32_e32 v[42:43], v3
	s_branch .LBB8_1397
.LBB8_1396:
	s_mov_b64 s[4:5], -1
                                        ; implicit-def: $vgpr42_vgpr43
.LBB8_1397:
	s_andn2_b64 vcc, exec, s[4:5]
	s_cbranch_vccnz .LBB8_1399
; %bb.1398:
	global_load_ubyte v3, v[6:7], off
	s_waitcnt vmcnt(0)
	v_cvt_f64_u32_e32 v[42:43], v3
.LBB8_1399:
.LBB8_1400:
	v_mov_b32_e32 v3, s43
	v_add_co_u32_e32 v4, vcc, s42, v4
	v_addc_co_u32_e32 v5, vcc, 0, v3, vcc
	v_mov_b32_e32 v3, 11
	v_cmp_lt_i16_sdwa s[4:5], s17, v3 src0_sel:BYTE_0 src1_sel:DWORD
	s_and_b64 vcc, exec, s[4:5]
	s_cbranch_vccnz .LBB8_1407
; %bb.1401:
	v_mov_b32_e32 v3, 25
	v_cmp_gt_i16_sdwa s[4:5], s17, v3 src0_sel:BYTE_0 src1_sel:DWORD
	s_mov_b64 s[6:7], 0
	s_and_b64 vcc, exec, s[4:5]
	s_cbranch_vccz .LBB8_1409
; %bb.1402:
	v_mov_b32_e32 v3, 28
	v_cmp_gt_i16_sdwa s[4:5], s17, v3 src0_sel:BYTE_0 src1_sel:DWORD
	s_and_b64 vcc, exec, s[4:5]
	s_cbranch_vccz .LBB8_1410
; %bb.1403:
	v_mov_b32_e32 v3, 43
	v_cmp_gt_i16_sdwa s[4:5], s17, v3 src0_sel:BYTE_0 src1_sel:DWORD
	;; [unrolled: 5-line block ×3, first 2 shown]
	s_and_b64 vcc, exec, s[4:5]
	s_cbranch_vccz .LBB8_1413
; %bb.1405:
	v_mov_b32_e32 v3, 46
	v_cmp_eq_u16_sdwa s[4:5], s17, v3 src0_sel:BYTE_0 src1_sel:DWORD
	s_mov_b64 s[10:11], 0
	s_and_b64 vcc, exec, s[4:5]
	s_cbranch_vccz .LBB8_1414
; %bb.1406:
	global_load_dword v3, v[4:5], off
	s_mov_b64 s[4:5], 0
	s_mov_b64 s[8:9], -1
	s_waitcnt vmcnt(0)
	v_lshlrev_b32_e32 v3, 16, v3
	v_cvt_f64_f32_e32 v[44:45], v3
	s_branch .LBB8_1415
.LBB8_1407:
	s_mov_b64 s[8:9], 0
                                        ; implicit-def: $vgpr44_vgpr45
	s_cbranch_execnz .LBB8_1481
.LBB8_1408:
	s_andn2_b64 vcc, exec, s[8:9]
	s_cbranch_vccnz .LBB8_2112
	s_branch .LBB8_1529
.LBB8_1409:
	s_mov_b64 s[10:11], -1
	s_mov_b64 s[8:9], 0
	s_mov_b64 s[4:5], 0
                                        ; implicit-def: $vgpr44_vgpr45
	s_branch .LBB8_1444
.LBB8_1410:
	s_mov_b64 s[10:11], -1
	s_mov_b64 s[8:9], 0
	s_mov_b64 s[4:5], 0
                                        ; implicit-def: $vgpr44_vgpr45
	s_branch .LBB8_1425
.LBB8_1411:
	s_mov_b64 s[10:11], -1
	s_mov_b64 s[8:9], 0
	s_mov_b64 s[4:5], 0
                                        ; implicit-def: $vgpr44_vgpr45
	s_branch .LBB8_1420
.LBB8_1412:
	s_trap 2
	s_or_b64 s[36:37], s[36:37], exec
                                        ; implicit-def: $vgpr42_vgpr43
	s_cbranch_execz .LBB8_1351
	s_branch .LBB8_1352
.LBB8_1413:
	s_mov_b64 s[10:11], -1
	s_mov_b64 s[8:9], 0
	s_mov_b64 s[4:5], 0
                                        ; implicit-def: $vgpr44_vgpr45
	s_branch .LBB8_1415
.LBB8_1414:
	s_mov_b64 s[4:5], -1
                                        ; implicit-def: $vgpr44_vgpr45
	s_mov_b64 s[8:9], 0
.LBB8_1415:
	s_and_b64 vcc, exec, s[10:11]
	s_cbranch_vccz .LBB8_1419
; %bb.1416:
	v_mov_b32_e32 v3, 44
	v_cmp_eq_u16_sdwa s[4:5], s17, v3 src0_sel:BYTE_0 src1_sel:DWORD
	s_and_b64 vcc, exec, s[4:5]
	s_cbranch_vccz .LBB8_1418
; %bb.1417:
	global_load_ubyte v3, v[4:5], off
	s_movk_i32 s8, 0xff
	v_bfrev_b32_e32 v8, 4
	v_mov_b32_e32 v9, 0x7ff80000
	v_bfrev_b32_e32 v10, 28
	s_mov_b64 s[4:5], 0
	s_waitcnt vmcnt(0)
	v_lshlrev_b32_e32 v6, 23, v3
	v_cvt_f64_f32_e32 v[6:7], v6
	v_cmp_ne_u32_e32 vcc, s8, v3
	v_cndmask_b32_e32 v6, v8, v6, vcc
	v_cndmask_b32_e32 v7, v9, v7, vcc
	v_cmp_ne_u32_e32 vcc, 0, v3
	v_cndmask_b32_e32 v45, v10, v7, vcc
	v_cndmask_b32_e32 v44, 0, v6, vcc
	s_mov_b64 s[8:9], -1
	s_branch .LBB8_1419
.LBB8_1418:
	s_mov_b64 s[4:5], -1
                                        ; implicit-def: $vgpr44_vgpr45
.LBB8_1419:
	s_mov_b64 s[10:11], 0
.LBB8_1420:
	s_and_b64 vcc, exec, s[10:11]
	s_cbranch_vccz .LBB8_1424
; %bb.1421:
	v_mov_b32_e32 v3, 29
	v_cmp_eq_u16_sdwa s[4:5], s17, v3 src0_sel:BYTE_0 src1_sel:DWORD
	s_and_b64 vcc, exec, s[4:5]
	s_cbranch_vccz .LBB8_1423
; %bb.1422:
	global_load_dwordx2 v[6:7], v[4:5], off
	s_mov_b64 s[4:5], 0
	s_mov_b64 s[8:9], -1
	s_mov_b64 s[10:11], 0
	s_waitcnt vmcnt(0)
	v_cvt_f64_u32_e32 v[8:9], v7
	v_cvt_f64_u32_e32 v[6:7], v6
	v_ldexp_f64 v[8:9], v[8:9], 32
	v_add_f64 v[44:45], v[8:9], v[6:7]
	s_branch .LBB8_1425
.LBB8_1423:
	s_mov_b64 s[4:5], -1
                                        ; implicit-def: $vgpr44_vgpr45
.LBB8_1424:
	s_mov_b64 s[10:11], 0
.LBB8_1425:
	s_and_b64 vcc, exec, s[10:11]
	s_cbranch_vccz .LBB8_1443
; %bb.1426:
	v_mov_b32_e32 v3, 27
	v_cmp_lt_i16_sdwa s[8:9], s17, v3 src0_sel:BYTE_0 src1_sel:DWORD
	s_and_b64 vcc, exec, s[8:9]
	s_cbranch_vccnz .LBB8_1429
; %bb.1427:
	v_cmp_gt_i16_sdwa s[8:9], s17, v3 src0_sel:BYTE_0 src1_sel:DWORD
	s_and_b64 vcc, exec, s[8:9]
	s_cbranch_vccz .LBB8_1430
; %bb.1428:
	global_load_dword v3, v[4:5], off
	s_mov_b64 s[8:9], 0
	s_waitcnt vmcnt(0)
	v_cvt_f64_u32_e32 v[44:45], v3
	s_branch .LBB8_1431
.LBB8_1429:
	s_mov_b64 s[8:9], -1
                                        ; implicit-def: $vgpr44_vgpr45
	s_branch .LBB8_1434
.LBB8_1430:
	s_mov_b64 s[8:9], -1
                                        ; implicit-def: $vgpr44_vgpr45
.LBB8_1431:
	s_andn2_b64 vcc, exec, s[8:9]
	s_cbranch_vccnz .LBB8_1433
; %bb.1432:
	global_load_ushort v3, v[4:5], off
	s_waitcnt vmcnt(0)
	v_cvt_f64_u32_e32 v[44:45], v3
.LBB8_1433:
	s_mov_b64 s[8:9], 0
.LBB8_1434:
	s_andn2_b64 vcc, exec, s[8:9]
	s_cbranch_vccnz .LBB8_1442
; %bb.1435:
	global_load_ubyte v3, v[4:5], off
	s_movk_i32 s8, 0x7f
                                        ; implicit-def: $sgpr10_sgpr11
	s_waitcnt vmcnt(0)
	v_cmp_lt_i16_e32 vcc, s8, v3
	s_mov_b64 s[8:9], 0
	s_and_saveexec_b64 s[12:13], vcc
	s_xor_b64 s[12:13], exec, s[12:13]
	s_cbranch_execz .LBB8_1456
; %bb.1436:
	s_movk_i32 s8, 0x80
	v_cmp_eq_u16_e32 vcc, s8, v3
	s_mov_b64 s[14:15], -1
                                        ; implicit-def: $sgpr10_sgpr11
	s_and_saveexec_b64 s[8:9], vcc
; %bb.1437:
	s_mov_b32 s11, 0x7ff80000
	s_brev_b32 s10, 4
	s_xor_b64 s[14:15], exec, -1
; %bb.1438:
	s_or_b64 exec, exec, s[8:9]
	s_and_b64 s[8:9], s[14:15], exec
	s_or_saveexec_b64 s[12:13], s[12:13]
	v_pk_mov_b32 v[44:45], s[10:11], s[10:11] op_sel:[0,1]
	s_xor_b64 exec, exec, s[12:13]
	s_cbranch_execnz .LBB8_1457
.LBB8_1439:
	s_or_b64 exec, exec, s[12:13]
	s_and_saveexec_b64 s[10:11], s[8:9]
	s_cbranch_execz .LBB8_1441
.LBB8_1440:
	v_lshlrev_b32_e32 v6, 24, v3
	v_and_b32_e32 v3, 0xffff, v3
	v_and_b32_e32 v7, 7, v3
	v_ffbh_u32_e32 v9, v7
	v_min_u32_e32 v9, 32, v9
	v_subrev_u32_e32 v10, 28, v9
	v_bfe_u32 v8, v3, 3, 4
	v_lshlrev_b32_e32 v3, v10, v3
	v_sub_u32_e32 v9, 29, v9
	v_and_b32_e32 v3, 7, v3
	v_cmp_eq_u32_e32 vcc, 0, v8
	v_cndmask_b32_e32 v8, v8, v9, vcc
	v_cndmask_b32_e32 v3, v7, v3, vcc
	v_mov_b32_e32 v7, 0x3b800000
	v_lshlrev_b32_e32 v3, 20, v3
	v_and_b32_e32 v6, 0x80000000, v6
	v_lshl_add_u32 v7, v8, 23, v7
	v_or3_b32 v3, v6, v7, v3
	v_cvt_f64_f32_e32 v[44:45], v3
.LBB8_1441:
	s_or_b64 exec, exec, s[10:11]
.LBB8_1442:
	s_mov_b64 s[8:9], -1
.LBB8_1443:
	s_mov_b64 s[10:11], 0
.LBB8_1444:
	s_and_b64 vcc, exec, s[10:11]
	s_cbranch_vccz .LBB8_1477
; %bb.1445:
	v_mov_b32_e32 v3, 22
	v_cmp_gt_i16_sdwa s[6:7], s17, v3 src0_sel:BYTE_0 src1_sel:DWORD
	s_and_b64 vcc, exec, s[6:7]
	s_cbranch_vccz .LBB8_1455
; %bb.1446:
	v_mov_b32_e32 v3, 24
	v_cmp_lt_i16_sdwa s[6:7], s17, v3 src0_sel:BYTE_0 src1_sel:DWORD
	s_and_b64 vcc, exec, s[6:7]
	s_cbranch_vccnz .LBB8_1458
; %bb.1447:
	v_cmp_gt_i16_sdwa s[6:7], s17, v3 src0_sel:BYTE_0 src1_sel:DWORD
	s_and_b64 vcc, exec, s[6:7]
	s_cbranch_vccz .LBB8_1459
; %bb.1448:
	global_load_ubyte v3, v[4:5], off
	s_movk_i32 s6, 0x7f
                                        ; implicit-def: $sgpr8_sgpr9
	s_waitcnt vmcnt(0)
	v_cmp_lt_i16_e32 vcc, s6, v3
	s_mov_b64 s[6:7], 0
	s_and_saveexec_b64 s[10:11], vcc
	s_xor_b64 s[10:11], exec, s[10:11]
	s_cbranch_execz .LBB8_1471
; %bb.1449:
	s_movk_i32 s6, 0x80
	v_cmp_eq_u16_e32 vcc, s6, v3
	s_mov_b64 s[12:13], -1
                                        ; implicit-def: $sgpr8_sgpr9
	s_and_saveexec_b64 s[6:7], vcc
; %bb.1450:
	s_mov_b32 s9, 0x7ff80000
	s_brev_b32 s8, 4
	s_xor_b64 s[12:13], exec, -1
; %bb.1451:
	s_or_b64 exec, exec, s[6:7]
	s_and_b64 s[6:7], s[12:13], exec
	s_or_saveexec_b64 s[10:11], s[10:11]
	v_pk_mov_b32 v[44:45], s[8:9], s[8:9] op_sel:[0,1]
	s_xor_b64 exec, exec, s[10:11]
	s_cbranch_execnz .LBB8_1472
.LBB8_1452:
	s_or_b64 exec, exec, s[10:11]
	s_and_saveexec_b64 s[8:9], s[6:7]
	s_cbranch_execz .LBB8_1454
.LBB8_1453:
	v_lshlrev_b32_e32 v6, 24, v3
	v_and_b32_e32 v3, 0xffff, v3
	v_and_b32_e32 v7, 3, v3
	v_ffbh_u32_e32 v9, v7
	v_min_u32_e32 v9, 32, v9
	v_subrev_u32_e32 v10, 29, v9
	v_bfe_u32 v8, v3, 2, 5
	v_lshlrev_b32_e32 v3, v10, v3
	v_sub_u32_e32 v9, 30, v9
	v_and_b32_e32 v3, 3, v3
	v_cmp_eq_u32_e32 vcc, 0, v8
	v_cndmask_b32_e32 v8, v8, v9, vcc
	v_cndmask_b32_e32 v3, v7, v3, vcc
	v_mov_b32_e32 v7, 0x37800000
	v_lshlrev_b32_e32 v3, 21, v3
	v_and_b32_e32 v6, 0x80000000, v6
	v_lshl_add_u32 v7, v8, 23, v7
	v_or3_b32 v3, v6, v7, v3
	v_cvt_f64_f32_e32 v[44:45], v3
.LBB8_1454:
	s_or_b64 exec, exec, s[8:9]
	s_mov_b64 s[6:7], 0
	s_branch .LBB8_1460
.LBB8_1455:
	s_mov_b64 s[6:7], -1
                                        ; implicit-def: $vgpr44_vgpr45
	s_branch .LBB8_1466
.LBB8_1456:
	s_or_saveexec_b64 s[12:13], s[12:13]
	v_pk_mov_b32 v[44:45], s[10:11], s[10:11] op_sel:[0,1]
	s_xor_b64 exec, exec, s[12:13]
	s_cbranch_execz .LBB8_1439
.LBB8_1457:
	v_cmp_ne_u16_e32 vcc, 0, v3
	s_andn2_b64 s[8:9], s[8:9], exec
	s_and_b64 s[10:11], vcc, exec
	v_pk_mov_b32 v[44:45], 0, 0
	s_or_b64 s[8:9], s[8:9], s[10:11]
	s_or_b64 exec, exec, s[12:13]
	s_and_saveexec_b64 s[10:11], s[8:9]
	s_cbranch_execnz .LBB8_1440
	s_branch .LBB8_1441
.LBB8_1458:
	s_mov_b64 s[6:7], -1
                                        ; implicit-def: $vgpr44_vgpr45
	s_branch .LBB8_1463
.LBB8_1459:
	s_mov_b64 s[6:7], -1
                                        ; implicit-def: $vgpr44_vgpr45
.LBB8_1460:
	s_and_b64 vcc, exec, s[6:7]
	s_cbranch_vccz .LBB8_1462
; %bb.1461:
	global_load_ubyte v3, v[4:5], off
	s_mov_b32 s6, 0x7f800000
	s_waitcnt vmcnt(0)
	v_lshlrev_b32_e32 v3, 24, v3
	v_and_b32_e32 v6, 0x7f000000, v3
	v_ffbh_u32_e32 v7, v6
	v_min_u32_e32 v7, 32, v7
	v_sub_u32_e64 v7, v7, 4 clamp
	v_lshlrev_b32_e32 v9, v7, v6
	v_lshlrev_b32_e32 v7, 23, v7
	v_lshrrev_b32_e32 v9, 4, v9
	v_add_u32_e32 v8, 0x1000000, v6
	v_sub_u32_e32 v7, v9, v7
	v_ashrrev_i32_e32 v8, 8, v8
	v_add_u32_e32 v7, 0x3c000000, v7
	v_and_or_b32 v7, v8, s6, v7
	v_cmp_ne_u32_e32 vcc, 0, v6
	v_cndmask_b32_e32 v6, 0, v7, vcc
	s_brev_b32 s6, 1
	v_and_or_b32 v3, v3, s6, v6
	v_cvt_f64_f32_e32 v[44:45], v3
.LBB8_1462:
	s_mov_b64 s[6:7], 0
.LBB8_1463:
	s_andn2_b64 vcc, exec, s[6:7]
	s_cbranch_vccnz .LBB8_1465
; %bb.1464:
	global_load_ubyte v3, v[4:5], off
	s_movk_i32 s6, 0x7f00
	s_brev_b32 s7, 16
	s_waitcnt vmcnt(0)
	v_lshlrev_b16_e32 v6, 8, v3
	v_lshlrev_b32_e32 v3, 25, v3
	v_lshrrev_b32_e32 v7, 4, v3
	v_and_or_b32 v8, v6, s6, 0.5
	v_or_b32_e32 v7, 0x70000000, v7
	v_add_f32_e32 v8, -0.5, v8
	v_mul_f32_e32 v7, 0x7800000, v7
	v_cmp_gt_u32_e32 vcc, s7, v3
	v_bfe_i32 v6, v6, 0, 16
	v_cndmask_b32_e32 v3, v7, v8, vcc
	s_brev_b32 s6, 1
	v_and_or_b32 v3, v6, s6, v3
	v_cvt_f64_f32_e32 v[44:45], v3
.LBB8_1465:
	s_mov_b64 s[6:7], 0
	s_mov_b64 s[8:9], -1
.LBB8_1466:
	s_andn2_b64 vcc, exec, s[6:7]
	s_mov_b64 s[6:7], 0
	s_cbranch_vccnz .LBB8_1477
; %bb.1467:
	v_mov_b32_e32 v3, 14
	v_cmp_gt_i16_sdwa s[6:7], s17, v3 src0_sel:BYTE_0 src1_sel:DWORD
	s_and_b64 vcc, exec, s[6:7]
	s_cbranch_vccz .LBB8_1470
; %bb.1468:
	v_mov_b32_e32 v3, 15
	v_cmp_eq_u16_sdwa s[4:5], s17, v3 src0_sel:BYTE_0 src1_sel:DWORD
	s_and_b64 vcc, exec, s[4:5]
	s_cbranch_vccz .LBB8_1473
; %bb.1469:
	global_load_ushort v3, v[4:5], off
	s_mov_b64 s[4:5], 0
	s_mov_b64 s[8:9], -1
	s_waitcnt vmcnt(0)
	v_lshlrev_b32_e32 v3, 16, v3
	v_cvt_f64_f32_e32 v[44:45], v3
	s_branch .LBB8_1474
.LBB8_1470:
	s_mov_b64 s[10:11], -1
                                        ; implicit-def: $vgpr44_vgpr45
	s_branch .LBB8_1475
.LBB8_1471:
	s_or_saveexec_b64 s[10:11], s[10:11]
	v_pk_mov_b32 v[44:45], s[8:9], s[8:9] op_sel:[0,1]
	s_xor_b64 exec, exec, s[10:11]
	s_cbranch_execz .LBB8_1452
.LBB8_1472:
	v_cmp_ne_u16_e32 vcc, 0, v3
	s_andn2_b64 s[6:7], s[6:7], exec
	s_and_b64 s[8:9], vcc, exec
	v_pk_mov_b32 v[44:45], 0, 0
	s_or_b64 s[6:7], s[6:7], s[8:9]
	s_or_b64 exec, exec, s[10:11]
	s_and_saveexec_b64 s[8:9], s[6:7]
	s_cbranch_execnz .LBB8_1453
	s_branch .LBB8_1454
.LBB8_1473:
	s_mov_b64 s[4:5], -1
                                        ; implicit-def: $vgpr44_vgpr45
.LBB8_1474:
	s_mov_b64 s[10:11], 0
.LBB8_1475:
	s_mov_b64 s[6:7], 0
	s_and_b64 vcc, exec, s[10:11]
	s_cbranch_vccz .LBB8_1477
; %bb.1476:
	v_mov_b32_e32 v3, 11
	v_cmp_ne_u16_sdwa s[4:5], s17, v3 src0_sel:BYTE_0 src1_sel:DWORD
	s_mov_b64 s[6:7], -1
                                        ; implicit-def: $vgpr44_vgpr45
.LBB8_1477:
	s_and_b64 vcc, exec, s[4:5]
	s_cbranch_vccnz .LBB8_1540
; %bb.1478:
	s_andn2_b64 vcc, exec, s[6:7]
	s_cbranch_vccnz .LBB8_1480
.LBB8_1479:
	global_load_ubyte v3, v[4:5], off
	v_mov_b32_e32 v6, 0x3ff00000
	v_mov_b32_e32 v44, 0
	s_mov_b64 s[8:9], -1
	s_waitcnt vmcnt(0)
	v_cmp_ne_u16_e32 vcc, 0, v3
	v_cndmask_b32_e32 v45, 0, v6, vcc
.LBB8_1480:
	s_branch .LBB8_1408
.LBB8_1481:
	v_mov_b32_e32 v3, 5
	v_cmp_lt_i16_sdwa s[4:5], s17, v3 src0_sel:BYTE_0 src1_sel:DWORD
	s_and_b64 vcc, exec, s[4:5]
	s_cbranch_vccnz .LBB8_1486
; %bb.1482:
	v_mov_b32_e32 v3, 8
	v_cmp_lt_i16_sdwa s[4:5], s17, v3 src0_sel:BYTE_0 src1_sel:DWORD
	s_and_b64 vcc, exec, s[4:5]
	s_cbranch_vccnz .LBB8_1487
; %bb.1483:
	;; [unrolled: 5-line block ×3, first 2 shown]
	v_cmp_gt_i16_sdwa s[4:5], s17, v3 src0_sel:BYTE_0 src1_sel:DWORD
	s_and_b64 vcc, exec, s[4:5]
	s_cbranch_vccz .LBB8_1489
; %bb.1485:
	global_load_dwordx2 v[44:45], v[4:5], off
	s_mov_b64 s[4:5], 0
	s_branch .LBB8_1490
.LBB8_1486:
	s_mov_b64 s[4:5], -1
                                        ; implicit-def: $vgpr44_vgpr45
	s_branch .LBB8_1508
.LBB8_1487:
	s_mov_b64 s[4:5], -1
                                        ; implicit-def: $vgpr44_vgpr45
	s_branch .LBB8_1496
.LBB8_1488:
	s_mov_b64 s[4:5], -1
                                        ; implicit-def: $vgpr44_vgpr45
	s_branch .LBB8_1493
.LBB8_1489:
	s_mov_b64 s[4:5], -1
                                        ; implicit-def: $vgpr44_vgpr45
.LBB8_1490:
	s_andn2_b64 vcc, exec, s[4:5]
	s_cbranch_vccnz .LBB8_1492
; %bb.1491:
	global_load_dword v3, v[4:5], off
	s_waitcnt vmcnt(0)
	v_cvt_f64_f32_e32 v[44:45], v3
.LBB8_1492:
	s_mov_b64 s[4:5], 0
.LBB8_1493:
	s_andn2_b64 vcc, exec, s[4:5]
	s_cbranch_vccnz .LBB8_1495
; %bb.1494:
	global_load_dword v3, v[4:5], off
	s_waitcnt vmcnt(0)
	v_cvt_f32_f16_e32 v3, v3
	v_cvt_f64_f32_e32 v[44:45], v3
.LBB8_1495:
	s_mov_b64 s[4:5], 0
.LBB8_1496:
	s_andn2_b64 vcc, exec, s[4:5]
	s_cbranch_vccnz .LBB8_1507
; %bb.1497:
	v_mov_b32_e32 v3, 6
	v_cmp_lt_i16_sdwa s[4:5], s17, v3 src0_sel:BYTE_0 src1_sel:DWORD
	s_and_b64 vcc, exec, s[4:5]
	s_cbranch_vccnz .LBB8_1500
; %bb.1498:
	v_cmp_gt_i16_sdwa s[4:5], s17, v3 src0_sel:BYTE_0 src1_sel:DWORD
	s_and_b64 vcc, exec, s[4:5]
	s_cbranch_vccz .LBB8_1501
; %bb.1499:
	global_load_dwordx2 v[44:45], v[4:5], off
	s_mov_b64 s[4:5], 0
	s_branch .LBB8_1502
.LBB8_1500:
	s_mov_b64 s[4:5], -1
                                        ; implicit-def: $vgpr44_vgpr45
	s_branch .LBB8_1505
.LBB8_1501:
	s_mov_b64 s[4:5], -1
                                        ; implicit-def: $vgpr44_vgpr45
.LBB8_1502:
	s_andn2_b64 vcc, exec, s[4:5]
	s_cbranch_vccnz .LBB8_1504
; %bb.1503:
	global_load_dword v3, v[4:5], off
	s_waitcnt vmcnt(0)
	v_cvt_f64_f32_e32 v[44:45], v3
.LBB8_1504:
	s_mov_b64 s[4:5], 0
.LBB8_1505:
	s_andn2_b64 vcc, exec, s[4:5]
	s_cbranch_vccnz .LBB8_1507
; %bb.1506:
	global_load_ushort v3, v[4:5], off
	s_waitcnt vmcnt(0)
	v_cvt_f32_f16_e32 v3, v3
	v_cvt_f64_f32_e32 v[44:45], v3
.LBB8_1507:
	s_mov_b64 s[4:5], 0
.LBB8_1508:
	s_andn2_b64 vcc, exec, s[4:5]
	s_cbranch_vccnz .LBB8_1528
; %bb.1509:
	v_mov_b32_e32 v3, 2
	v_cmp_lt_i16_sdwa s[4:5], s17, v3 src0_sel:BYTE_0 src1_sel:DWORD
	s_and_b64 vcc, exec, s[4:5]
	s_cbranch_vccnz .LBB8_1513
; %bb.1510:
	v_mov_b32_e32 v3, 3
	v_cmp_lt_i16_sdwa s[4:5], s17, v3 src0_sel:BYTE_0 src1_sel:DWORD
	s_and_b64 vcc, exec, s[4:5]
	s_cbranch_vccnz .LBB8_1514
; %bb.1511:
	v_cmp_gt_i16_sdwa s[4:5], s17, v3 src0_sel:BYTE_0 src1_sel:DWORD
	s_and_b64 vcc, exec, s[4:5]
	s_cbranch_vccz .LBB8_1515
; %bb.1512:
	global_load_dwordx2 v[6:7], v[4:5], off
	s_mov_b64 s[4:5], 0
	s_waitcnt vmcnt(0)
	v_cvt_f64_i32_e32 v[8:9], v7
	v_cvt_f64_u32_e32 v[6:7], v6
	v_ldexp_f64 v[8:9], v[8:9], 32
	v_add_f64 v[44:45], v[8:9], v[6:7]
	s_branch .LBB8_1516
.LBB8_1513:
	s_mov_b64 s[4:5], -1
                                        ; implicit-def: $vgpr44_vgpr45
	s_branch .LBB8_1522
.LBB8_1514:
	s_mov_b64 s[4:5], -1
                                        ; implicit-def: $vgpr44_vgpr45
	s_branch .LBB8_1519
.LBB8_1515:
	s_mov_b64 s[4:5], -1
                                        ; implicit-def: $vgpr44_vgpr45
.LBB8_1516:
	s_andn2_b64 vcc, exec, s[4:5]
	s_cbranch_vccnz .LBB8_1518
; %bb.1517:
	global_load_dword v3, v[4:5], off
	s_waitcnt vmcnt(0)
	v_cvt_f64_i32_e32 v[44:45], v3
.LBB8_1518:
	s_mov_b64 s[4:5], 0
.LBB8_1519:
	s_andn2_b64 vcc, exec, s[4:5]
	s_cbranch_vccnz .LBB8_1521
; %bb.1520:
	global_load_sshort v3, v[4:5], off
	s_waitcnt vmcnt(0)
	v_cvt_f64_i32_e32 v[44:45], v3
.LBB8_1521:
	s_mov_b64 s[4:5], 0
.LBB8_1522:
	s_andn2_b64 vcc, exec, s[4:5]
	s_cbranch_vccnz .LBB8_1528
; %bb.1523:
	v_mov_b32_e32 v3, 0
	v_cmp_gt_i16_sdwa s[4:5], s17, v3 src0_sel:BYTE_0 src1_sel:DWORD
	s_and_b64 vcc, exec, s[4:5]
	s_cbranch_vccz .LBB8_1525
; %bb.1524:
	global_load_sbyte v3, v[4:5], off
	s_mov_b64 s[4:5], 0
	s_waitcnt vmcnt(0)
	v_cvt_f64_i32_e32 v[44:45], v3
	s_branch .LBB8_1526
.LBB8_1525:
	s_mov_b64 s[4:5], -1
                                        ; implicit-def: $vgpr44_vgpr45
.LBB8_1526:
	s_andn2_b64 vcc, exec, s[4:5]
	s_cbranch_vccnz .LBB8_1528
; %bb.1527:
	global_load_ubyte v3, v[4:5], off
	s_waitcnt vmcnt(0)
	v_cvt_f64_u32_e32 v[44:45], v3
.LBB8_1528:
.LBB8_1529:
	v_mov_b32_e32 v3, s43
	v_add_co_u32_e32 v2, vcc, s42, v2
	v_mov_b32_e32 v4, 11
	v_addc_co_u32_e32 v3, vcc, 0, v3, vcc
	v_cmp_lt_i16_sdwa s[4:5], s17, v4 src0_sel:BYTE_0 src1_sel:DWORD
	s_and_b64 vcc, exec, s[4:5]
	s_cbranch_vccnz .LBB8_1536
; %bb.1530:
	v_mov_b32_e32 v4, 25
	v_cmp_gt_i16_sdwa s[4:5], s17, v4 src0_sel:BYTE_0 src1_sel:DWORD
	s_mov_b64 s[6:7], 0
	s_and_b64 vcc, exec, s[4:5]
	s_cbranch_vccz .LBB8_1537
; %bb.1531:
	v_mov_b32_e32 v4, 28
	v_cmp_gt_i16_sdwa s[4:5], s17, v4 src0_sel:BYTE_0 src1_sel:DWORD
	s_and_b64 vcc, exec, s[4:5]
	s_cbranch_vccz .LBB8_1538
; %bb.1532:
	v_mov_b32_e32 v4, 43
	v_cmp_gt_i16_sdwa s[4:5], s17, v4 src0_sel:BYTE_0 src1_sel:DWORD
	;; [unrolled: 5-line block ×3, first 2 shown]
	s_and_b64 vcc, exec, s[4:5]
	s_cbranch_vccz .LBB8_1541
; %bb.1534:
	v_mov_b32_e32 v4, 46
	v_cmp_eq_u16_sdwa s[4:5], s17, v4 src0_sel:BYTE_0 src1_sel:DWORD
	s_mov_b64 s[10:11], 0
	s_and_b64 vcc, exec, s[4:5]
	s_cbranch_vccz .LBB8_1542
; %bb.1535:
	global_load_dword v4, v[2:3], off
	s_mov_b64 s[4:5], 0
	s_mov_b64 s[8:9], -1
	s_waitcnt vmcnt(0)
	v_lshlrev_b32_e32 v4, 16, v4
	v_cvt_f64_f32_e32 v[46:47], v4
	s_branch .LBB8_1543
.LBB8_1536:
	s_mov_b64 s[4:5], -1
	s_mov_b64 s[8:9], 0
                                        ; implicit-def: $vgpr46_vgpr47
	s_branch .LBB8_1609
.LBB8_1537:
	s_mov_b64 s[10:11], -1
	s_mov_b64 s[8:9], 0
	s_mov_b64 s[4:5], 0
                                        ; implicit-def: $vgpr46_vgpr47
	s_branch .LBB8_1572
.LBB8_1538:
	s_mov_b64 s[10:11], -1
	s_mov_b64 s[8:9], 0
	s_mov_b64 s[4:5], 0
                                        ; implicit-def: $vgpr46_vgpr47
	s_branch .LBB8_1553
.LBB8_1539:
	s_mov_b64 s[10:11], -1
	s_mov_b64 s[8:9], 0
	s_mov_b64 s[4:5], 0
                                        ; implicit-def: $vgpr46_vgpr47
	s_branch .LBB8_1548
.LBB8_1540:
	s_trap 2
	s_or_b64 s[36:37], s[36:37], exec
                                        ; implicit-def: $vgpr44_vgpr45
	s_cbranch_execz .LBB8_1479
	s_branch .LBB8_1480
.LBB8_1541:
	s_mov_b64 s[10:11], -1
	s_mov_b64 s[8:9], 0
	s_mov_b64 s[4:5], 0
                                        ; implicit-def: $vgpr46_vgpr47
	s_branch .LBB8_1543
.LBB8_1542:
	s_mov_b64 s[4:5], -1
                                        ; implicit-def: $vgpr46_vgpr47
	s_mov_b64 s[8:9], 0
.LBB8_1543:
	s_and_b64 vcc, exec, s[10:11]
	s_cbranch_vccz .LBB8_1547
; %bb.1544:
	v_mov_b32_e32 v4, 44
	v_cmp_eq_u16_sdwa s[4:5], s17, v4 src0_sel:BYTE_0 src1_sel:DWORD
	s_and_b64 vcc, exec, s[4:5]
	s_cbranch_vccz .LBB8_1546
; %bb.1545:
	global_load_ubyte v6, v[2:3], off
	s_movk_i32 s8, 0xff
	v_bfrev_b32_e32 v7, 4
	v_mov_b32_e32 v8, 0x7ff80000
	v_bfrev_b32_e32 v9, 28
	s_mov_b64 s[4:5], 0
	s_waitcnt vmcnt(0)
	v_lshlrev_b32_e32 v4, 23, v6
	v_cvt_f64_f32_e32 v[4:5], v4
	v_cmp_ne_u32_e32 vcc, s8, v6
	v_cndmask_b32_e32 v4, v7, v4, vcc
	v_cndmask_b32_e32 v5, v8, v5, vcc
	v_cmp_ne_u32_e32 vcc, 0, v6
	v_cndmask_b32_e32 v47, v9, v5, vcc
	v_cndmask_b32_e32 v46, 0, v4, vcc
	s_mov_b64 s[8:9], -1
	s_branch .LBB8_1547
.LBB8_1546:
	s_mov_b64 s[4:5], -1
                                        ; implicit-def: $vgpr46_vgpr47
.LBB8_1547:
	s_mov_b64 s[10:11], 0
.LBB8_1548:
	s_and_b64 vcc, exec, s[10:11]
	s_cbranch_vccz .LBB8_1552
; %bb.1549:
	v_mov_b32_e32 v4, 29
	v_cmp_eq_u16_sdwa s[4:5], s17, v4 src0_sel:BYTE_0 src1_sel:DWORD
	s_and_b64 vcc, exec, s[4:5]
	s_cbranch_vccz .LBB8_1551
; %bb.1550:
	global_load_dwordx2 v[4:5], v[2:3], off
	s_mov_b64 s[4:5], 0
	s_mov_b64 s[8:9], -1
	s_mov_b64 s[10:11], 0
	s_waitcnt vmcnt(0)
	v_cvt_f64_u32_e32 v[6:7], v5
	v_cvt_f64_u32_e32 v[4:5], v4
	v_ldexp_f64 v[6:7], v[6:7], 32
	v_add_f64 v[46:47], v[6:7], v[4:5]
	s_branch .LBB8_1553
.LBB8_1551:
	s_mov_b64 s[4:5], -1
                                        ; implicit-def: $vgpr46_vgpr47
.LBB8_1552:
	s_mov_b64 s[10:11], 0
.LBB8_1553:
	s_and_b64 vcc, exec, s[10:11]
	s_cbranch_vccz .LBB8_1571
; %bb.1554:
	v_mov_b32_e32 v4, 27
	v_cmp_lt_i16_sdwa s[8:9], s17, v4 src0_sel:BYTE_0 src1_sel:DWORD
	s_and_b64 vcc, exec, s[8:9]
	s_cbranch_vccnz .LBB8_1557
; %bb.1555:
	v_cmp_gt_i16_sdwa s[8:9], s17, v4 src0_sel:BYTE_0 src1_sel:DWORD
	s_and_b64 vcc, exec, s[8:9]
	s_cbranch_vccz .LBB8_1558
; %bb.1556:
	global_load_dword v4, v[2:3], off
	s_mov_b64 s[8:9], 0
	s_waitcnt vmcnt(0)
	v_cvt_f64_u32_e32 v[46:47], v4
	s_branch .LBB8_1559
.LBB8_1557:
	s_mov_b64 s[8:9], -1
                                        ; implicit-def: $vgpr46_vgpr47
	s_branch .LBB8_1562
.LBB8_1558:
	s_mov_b64 s[8:9], -1
                                        ; implicit-def: $vgpr46_vgpr47
.LBB8_1559:
	s_andn2_b64 vcc, exec, s[8:9]
	s_cbranch_vccnz .LBB8_1561
; %bb.1560:
	global_load_ushort v4, v[2:3], off
	s_waitcnt vmcnt(0)
	v_cvt_f64_u32_e32 v[46:47], v4
.LBB8_1561:
	s_mov_b64 s[8:9], 0
.LBB8_1562:
	s_andn2_b64 vcc, exec, s[8:9]
	s_cbranch_vccnz .LBB8_1570
; %bb.1563:
	global_load_ubyte v4, v[2:3], off
	s_movk_i32 s8, 0x7f
                                        ; implicit-def: $sgpr10_sgpr11
	s_waitcnt vmcnt(0)
	v_cmp_lt_i16_e32 vcc, s8, v4
	s_mov_b64 s[8:9], 0
	s_and_saveexec_b64 s[12:13], vcc
	s_xor_b64 s[12:13], exec, s[12:13]
	s_cbranch_execz .LBB8_1584
; %bb.1564:
	s_movk_i32 s8, 0x80
	v_cmp_eq_u16_e32 vcc, s8, v4
	s_mov_b64 s[14:15], -1
                                        ; implicit-def: $sgpr10_sgpr11
	s_and_saveexec_b64 s[8:9], vcc
; %bb.1565:
	s_mov_b32 s11, 0x7ff80000
	s_brev_b32 s10, 4
	s_xor_b64 s[14:15], exec, -1
; %bb.1566:
	s_or_b64 exec, exec, s[8:9]
	s_and_b64 s[8:9], s[14:15], exec
	s_or_saveexec_b64 s[12:13], s[12:13]
	v_pk_mov_b32 v[46:47], s[10:11], s[10:11] op_sel:[0,1]
	s_xor_b64 exec, exec, s[12:13]
	s_cbranch_execnz .LBB8_1585
.LBB8_1567:
	s_or_b64 exec, exec, s[12:13]
	s_and_saveexec_b64 s[10:11], s[8:9]
	s_cbranch_execz .LBB8_1569
.LBB8_1568:
	v_lshlrev_b32_e32 v5, 24, v4
	v_and_b32_e32 v4, 0xffff, v4
	v_and_b32_e32 v6, 7, v4
	v_ffbh_u32_e32 v8, v6
	v_min_u32_e32 v8, 32, v8
	v_subrev_u32_e32 v9, 28, v8
	v_bfe_u32 v7, v4, 3, 4
	v_lshlrev_b32_e32 v4, v9, v4
	v_sub_u32_e32 v8, 29, v8
	v_and_b32_e32 v4, 7, v4
	v_cmp_eq_u32_e32 vcc, 0, v7
	v_cndmask_b32_e32 v7, v7, v8, vcc
	v_cndmask_b32_e32 v4, v6, v4, vcc
	v_mov_b32_e32 v6, 0x3b800000
	v_lshlrev_b32_e32 v4, 20, v4
	v_and_b32_e32 v5, 0x80000000, v5
	v_lshl_add_u32 v6, v7, 23, v6
	v_or3_b32 v4, v5, v6, v4
	v_cvt_f64_f32_e32 v[46:47], v4
.LBB8_1569:
	s_or_b64 exec, exec, s[10:11]
.LBB8_1570:
	s_mov_b64 s[8:9], -1
.LBB8_1571:
	s_mov_b64 s[10:11], 0
.LBB8_1572:
	s_and_b64 vcc, exec, s[10:11]
	s_cbranch_vccz .LBB8_1605
; %bb.1573:
	v_mov_b32_e32 v4, 22
	v_cmp_gt_i16_sdwa s[6:7], s17, v4 src0_sel:BYTE_0 src1_sel:DWORD
	s_and_b64 vcc, exec, s[6:7]
	s_cbranch_vccz .LBB8_1583
; %bb.1574:
	v_mov_b32_e32 v4, 24
	v_cmp_lt_i16_sdwa s[6:7], s17, v4 src0_sel:BYTE_0 src1_sel:DWORD
	s_and_b64 vcc, exec, s[6:7]
	s_cbranch_vccnz .LBB8_1586
; %bb.1575:
	v_cmp_gt_i16_sdwa s[6:7], s17, v4 src0_sel:BYTE_0 src1_sel:DWORD
	s_and_b64 vcc, exec, s[6:7]
	s_cbranch_vccz .LBB8_1587
; %bb.1576:
	global_load_ubyte v4, v[2:3], off
	s_movk_i32 s6, 0x7f
                                        ; implicit-def: $sgpr8_sgpr9
	s_waitcnt vmcnt(0)
	v_cmp_lt_i16_e32 vcc, s6, v4
	s_mov_b64 s[6:7], 0
	s_and_saveexec_b64 s[10:11], vcc
	s_xor_b64 s[10:11], exec, s[10:11]
	s_cbranch_execz .LBB8_1599
; %bb.1577:
	s_movk_i32 s6, 0x80
	v_cmp_eq_u16_e32 vcc, s6, v4
	s_mov_b64 s[12:13], -1
                                        ; implicit-def: $sgpr8_sgpr9
	s_and_saveexec_b64 s[6:7], vcc
; %bb.1578:
	s_mov_b32 s9, 0x7ff80000
	s_brev_b32 s8, 4
	s_xor_b64 s[12:13], exec, -1
; %bb.1579:
	s_or_b64 exec, exec, s[6:7]
	s_and_b64 s[6:7], s[12:13], exec
	s_or_saveexec_b64 s[10:11], s[10:11]
	v_pk_mov_b32 v[46:47], s[8:9], s[8:9] op_sel:[0,1]
	s_xor_b64 exec, exec, s[10:11]
	s_cbranch_execnz .LBB8_1600
.LBB8_1580:
	s_or_b64 exec, exec, s[10:11]
	s_and_saveexec_b64 s[8:9], s[6:7]
	s_cbranch_execz .LBB8_1582
.LBB8_1581:
	v_lshlrev_b32_e32 v5, 24, v4
	v_and_b32_e32 v4, 0xffff, v4
	v_and_b32_e32 v6, 3, v4
	v_ffbh_u32_e32 v8, v6
	v_min_u32_e32 v8, 32, v8
	v_subrev_u32_e32 v9, 29, v8
	v_bfe_u32 v7, v4, 2, 5
	v_lshlrev_b32_e32 v4, v9, v4
	v_sub_u32_e32 v8, 30, v8
	v_and_b32_e32 v4, 3, v4
	v_cmp_eq_u32_e32 vcc, 0, v7
	v_cndmask_b32_e32 v7, v7, v8, vcc
	v_cndmask_b32_e32 v4, v6, v4, vcc
	v_mov_b32_e32 v6, 0x37800000
	v_lshlrev_b32_e32 v4, 21, v4
	v_and_b32_e32 v5, 0x80000000, v5
	v_lshl_add_u32 v6, v7, 23, v6
	v_or3_b32 v4, v5, v6, v4
	v_cvt_f64_f32_e32 v[46:47], v4
.LBB8_1582:
	s_or_b64 exec, exec, s[8:9]
	s_mov_b64 s[6:7], 0
	s_branch .LBB8_1588
.LBB8_1583:
	s_mov_b64 s[6:7], -1
                                        ; implicit-def: $vgpr46_vgpr47
	s_branch .LBB8_1594
.LBB8_1584:
	s_or_saveexec_b64 s[12:13], s[12:13]
	v_pk_mov_b32 v[46:47], s[10:11], s[10:11] op_sel:[0,1]
	s_xor_b64 exec, exec, s[12:13]
	s_cbranch_execz .LBB8_1567
.LBB8_1585:
	v_cmp_ne_u16_e32 vcc, 0, v4
	s_andn2_b64 s[8:9], s[8:9], exec
	s_and_b64 s[10:11], vcc, exec
	v_pk_mov_b32 v[46:47], 0, 0
	s_or_b64 s[8:9], s[8:9], s[10:11]
	s_or_b64 exec, exec, s[12:13]
	s_and_saveexec_b64 s[10:11], s[8:9]
	s_cbranch_execnz .LBB8_1568
	s_branch .LBB8_1569
.LBB8_1586:
	s_mov_b64 s[6:7], -1
                                        ; implicit-def: $vgpr46_vgpr47
	s_branch .LBB8_1591
.LBB8_1587:
	s_mov_b64 s[6:7], -1
                                        ; implicit-def: $vgpr46_vgpr47
.LBB8_1588:
	s_and_b64 vcc, exec, s[6:7]
	s_cbranch_vccz .LBB8_1590
; %bb.1589:
	global_load_ubyte v4, v[2:3], off
	s_mov_b32 s6, 0x7f800000
	s_waitcnt vmcnt(0)
	v_lshlrev_b32_e32 v4, 24, v4
	v_and_b32_e32 v5, 0x7f000000, v4
	v_ffbh_u32_e32 v6, v5
	v_min_u32_e32 v6, 32, v6
	v_sub_u32_e64 v6, v6, 4 clamp
	v_lshlrev_b32_e32 v8, v6, v5
	v_lshlrev_b32_e32 v6, 23, v6
	v_lshrrev_b32_e32 v8, 4, v8
	v_add_u32_e32 v7, 0x1000000, v5
	v_sub_u32_e32 v6, v8, v6
	v_ashrrev_i32_e32 v7, 8, v7
	v_add_u32_e32 v6, 0x3c000000, v6
	v_and_or_b32 v6, v7, s6, v6
	v_cmp_ne_u32_e32 vcc, 0, v5
	v_cndmask_b32_e32 v5, 0, v6, vcc
	s_brev_b32 s6, 1
	v_and_or_b32 v4, v4, s6, v5
	v_cvt_f64_f32_e32 v[46:47], v4
.LBB8_1590:
	s_mov_b64 s[6:7], 0
.LBB8_1591:
	s_andn2_b64 vcc, exec, s[6:7]
	s_cbranch_vccnz .LBB8_1593
; %bb.1592:
	global_load_ubyte v4, v[2:3], off
	s_movk_i32 s6, 0x7f00
	s_brev_b32 s7, 16
	s_waitcnt vmcnt(0)
	v_lshlrev_b16_e32 v5, 8, v4
	v_lshlrev_b32_e32 v4, 25, v4
	v_lshrrev_b32_e32 v6, 4, v4
	v_and_or_b32 v7, v5, s6, 0.5
	v_or_b32_e32 v6, 0x70000000, v6
	v_add_f32_e32 v7, -0.5, v7
	v_mul_f32_e32 v6, 0x7800000, v6
	v_cmp_gt_u32_e32 vcc, s7, v4
	v_bfe_i32 v5, v5, 0, 16
	v_cndmask_b32_e32 v4, v6, v7, vcc
	s_brev_b32 s6, 1
	v_and_or_b32 v4, v5, s6, v4
	v_cvt_f64_f32_e32 v[46:47], v4
.LBB8_1593:
	s_mov_b64 s[6:7], 0
	s_mov_b64 s[8:9], -1
.LBB8_1594:
	s_andn2_b64 vcc, exec, s[6:7]
	s_mov_b64 s[6:7], 0
	s_cbranch_vccnz .LBB8_1605
; %bb.1595:
	v_mov_b32_e32 v4, 14
	v_cmp_gt_i16_sdwa s[6:7], s17, v4 src0_sel:BYTE_0 src1_sel:DWORD
	s_and_b64 vcc, exec, s[6:7]
	s_cbranch_vccz .LBB8_1598
; %bb.1596:
	v_mov_b32_e32 v4, 15
	v_cmp_eq_u16_sdwa s[4:5], s17, v4 src0_sel:BYTE_0 src1_sel:DWORD
	s_and_b64 vcc, exec, s[4:5]
	s_cbranch_vccz .LBB8_1601
; %bb.1597:
	global_load_ushort v4, v[2:3], off
	s_mov_b64 s[4:5], 0
	s_mov_b64 s[8:9], -1
	s_waitcnt vmcnt(0)
	v_lshlrev_b32_e32 v4, 16, v4
	v_cvt_f64_f32_e32 v[46:47], v4
	s_branch .LBB8_1602
.LBB8_1598:
	s_mov_b64 s[10:11], -1
                                        ; implicit-def: $vgpr46_vgpr47
	s_branch .LBB8_1603
.LBB8_1599:
	s_or_saveexec_b64 s[10:11], s[10:11]
	v_pk_mov_b32 v[46:47], s[8:9], s[8:9] op_sel:[0,1]
	s_xor_b64 exec, exec, s[10:11]
	s_cbranch_execz .LBB8_1580
.LBB8_1600:
	v_cmp_ne_u16_e32 vcc, 0, v4
	s_andn2_b64 s[6:7], s[6:7], exec
	s_and_b64 s[8:9], vcc, exec
	v_pk_mov_b32 v[46:47], 0, 0
	s_or_b64 s[6:7], s[6:7], s[8:9]
	s_or_b64 exec, exec, s[10:11]
	s_and_saveexec_b64 s[8:9], s[6:7]
	s_cbranch_execnz .LBB8_1581
	s_branch .LBB8_1582
.LBB8_1601:
	s_mov_b64 s[4:5], -1
                                        ; implicit-def: $vgpr46_vgpr47
.LBB8_1602:
	s_mov_b64 s[10:11], 0
.LBB8_1603:
	s_mov_b64 s[6:7], 0
	s_and_b64 vcc, exec, s[10:11]
	s_cbranch_vccz .LBB8_1605
; %bb.1604:
	v_mov_b32_e32 v4, 11
	v_cmp_ne_u16_sdwa s[4:5], s17, v4 src0_sel:BYTE_0 src1_sel:DWORD
	s_mov_b64 s[6:7], -1
                                        ; implicit-def: $vgpr46_vgpr47
.LBB8_1605:
	s_and_b64 vcc, exec, s[4:5]
	s_cbranch_vccnz .LBB8_1669
; %bb.1606:
	s_andn2_b64 vcc, exec, s[6:7]
	s_cbranch_vccnz .LBB8_1608
.LBB8_1607:
	global_load_ubyte v4, v[2:3], off
	v_mov_b32_e32 v5, 0x3ff00000
	v_mov_b32_e32 v46, 0
	s_mov_b64 s[8:9], -1
	s_waitcnt vmcnt(0)
	v_cmp_ne_u16_e32 vcc, 0, v4
	v_cndmask_b32_e32 v47, 0, v5, vcc
.LBB8_1608:
	s_mov_b64 s[4:5], 0
.LBB8_1609:
	s_and_b64 vcc, exec, s[4:5]
	s_cbranch_vccz .LBB8_1658
; %bb.1610:
	v_mov_b32_e32 v4, 5
	v_cmp_lt_i16_sdwa s[4:5], s17, v4 src0_sel:BYTE_0 src1_sel:DWORD
	s_and_b64 vcc, exec, s[4:5]
	s_cbranch_vccnz .LBB8_1615
; %bb.1611:
	v_mov_b32_e32 v4, 8
	v_cmp_lt_i16_sdwa s[4:5], s17, v4 src0_sel:BYTE_0 src1_sel:DWORD
	s_and_b64 vcc, exec, s[4:5]
	s_cbranch_vccnz .LBB8_1616
	;; [unrolled: 5-line block ×3, first 2 shown]
; %bb.1613:
	v_cmp_gt_i16_sdwa s[4:5], s17, v4 src0_sel:BYTE_0 src1_sel:DWORD
	s_and_b64 vcc, exec, s[4:5]
	s_cbranch_vccz .LBB8_1618
; %bb.1614:
	global_load_dwordx2 v[46:47], v[2:3], off
	s_mov_b64 s[4:5], 0
	s_branch .LBB8_1619
.LBB8_1615:
	s_mov_b64 s[4:5], -1
                                        ; implicit-def: $vgpr46_vgpr47
	s_branch .LBB8_1637
.LBB8_1616:
	s_mov_b64 s[4:5], -1
                                        ; implicit-def: $vgpr46_vgpr47
	s_branch .LBB8_1625
.LBB8_1617:
	s_mov_b64 s[4:5], -1
                                        ; implicit-def: $vgpr46_vgpr47
	s_branch .LBB8_1622
.LBB8_1618:
	s_mov_b64 s[4:5], -1
                                        ; implicit-def: $vgpr46_vgpr47
.LBB8_1619:
	s_andn2_b64 vcc, exec, s[4:5]
	s_cbranch_vccnz .LBB8_1621
; %bb.1620:
	global_load_dword v4, v[2:3], off
	s_waitcnt vmcnt(0)
	v_cvt_f64_f32_e32 v[46:47], v4
.LBB8_1621:
	s_mov_b64 s[4:5], 0
.LBB8_1622:
	s_andn2_b64 vcc, exec, s[4:5]
	s_cbranch_vccnz .LBB8_1624
; %bb.1623:
	global_load_dword v4, v[2:3], off
	s_waitcnt vmcnt(0)
	v_cvt_f32_f16_e32 v4, v4
	v_cvt_f64_f32_e32 v[46:47], v4
.LBB8_1624:
	s_mov_b64 s[4:5], 0
.LBB8_1625:
	s_andn2_b64 vcc, exec, s[4:5]
	s_cbranch_vccnz .LBB8_1636
; %bb.1626:
	v_mov_b32_e32 v4, 6
	v_cmp_lt_i16_sdwa s[4:5], s17, v4 src0_sel:BYTE_0 src1_sel:DWORD
	s_and_b64 vcc, exec, s[4:5]
	s_cbranch_vccnz .LBB8_1629
; %bb.1627:
	v_cmp_gt_i16_sdwa s[4:5], s17, v4 src0_sel:BYTE_0 src1_sel:DWORD
	s_and_b64 vcc, exec, s[4:5]
	s_cbranch_vccz .LBB8_1630
; %bb.1628:
	global_load_dwordx2 v[46:47], v[2:3], off
	s_mov_b64 s[4:5], 0
	s_branch .LBB8_1631
.LBB8_1629:
	s_mov_b64 s[4:5], -1
                                        ; implicit-def: $vgpr46_vgpr47
	s_branch .LBB8_1634
.LBB8_1630:
	s_mov_b64 s[4:5], -1
                                        ; implicit-def: $vgpr46_vgpr47
.LBB8_1631:
	s_andn2_b64 vcc, exec, s[4:5]
	s_cbranch_vccnz .LBB8_1633
; %bb.1632:
	global_load_dword v4, v[2:3], off
	s_waitcnt vmcnt(0)
	v_cvt_f64_f32_e32 v[46:47], v4
.LBB8_1633:
	s_mov_b64 s[4:5], 0
.LBB8_1634:
	s_andn2_b64 vcc, exec, s[4:5]
	s_cbranch_vccnz .LBB8_1636
; %bb.1635:
	global_load_ushort v4, v[2:3], off
	s_waitcnt vmcnt(0)
	v_cvt_f32_f16_e32 v4, v4
	v_cvt_f64_f32_e32 v[46:47], v4
.LBB8_1636:
	s_mov_b64 s[4:5], 0
.LBB8_1637:
	s_andn2_b64 vcc, exec, s[4:5]
	s_cbranch_vccnz .LBB8_1657
; %bb.1638:
	v_mov_b32_e32 v4, 2
	v_cmp_lt_i16_sdwa s[4:5], s17, v4 src0_sel:BYTE_0 src1_sel:DWORD
	s_and_b64 vcc, exec, s[4:5]
	s_cbranch_vccnz .LBB8_1642
; %bb.1639:
	v_mov_b32_e32 v4, 3
	v_cmp_lt_i16_sdwa s[4:5], s17, v4 src0_sel:BYTE_0 src1_sel:DWORD
	s_and_b64 vcc, exec, s[4:5]
	s_cbranch_vccnz .LBB8_1643
; %bb.1640:
	v_cmp_gt_i16_sdwa s[4:5], s17, v4 src0_sel:BYTE_0 src1_sel:DWORD
	s_and_b64 vcc, exec, s[4:5]
	s_cbranch_vccz .LBB8_1644
; %bb.1641:
	global_load_dwordx2 v[4:5], v[2:3], off
	s_mov_b64 s[4:5], 0
	s_waitcnt vmcnt(0)
	v_cvt_f64_i32_e32 v[6:7], v5
	v_cvt_f64_u32_e32 v[4:5], v4
	v_ldexp_f64 v[6:7], v[6:7], 32
	v_add_f64 v[46:47], v[6:7], v[4:5]
	s_branch .LBB8_1645
.LBB8_1642:
	s_mov_b64 s[4:5], -1
                                        ; implicit-def: $vgpr46_vgpr47
	s_branch .LBB8_1651
.LBB8_1643:
	s_mov_b64 s[4:5], -1
                                        ; implicit-def: $vgpr46_vgpr47
	s_branch .LBB8_1648
.LBB8_1644:
	s_mov_b64 s[4:5], -1
                                        ; implicit-def: $vgpr46_vgpr47
.LBB8_1645:
	s_andn2_b64 vcc, exec, s[4:5]
	s_cbranch_vccnz .LBB8_1647
; %bb.1646:
	global_load_dword v4, v[2:3], off
	s_waitcnt vmcnt(0)
	v_cvt_f64_i32_e32 v[46:47], v4
.LBB8_1647:
	s_mov_b64 s[4:5], 0
.LBB8_1648:
	s_andn2_b64 vcc, exec, s[4:5]
	s_cbranch_vccnz .LBB8_1650
; %bb.1649:
	global_load_sshort v4, v[2:3], off
	s_waitcnt vmcnt(0)
	v_cvt_f64_i32_e32 v[46:47], v4
.LBB8_1650:
	s_mov_b64 s[4:5], 0
.LBB8_1651:
	s_andn2_b64 vcc, exec, s[4:5]
	s_cbranch_vccnz .LBB8_1657
; %bb.1652:
	v_mov_b32_e32 v4, 0
	v_cmp_gt_i16_sdwa s[4:5], s17, v4 src0_sel:BYTE_0 src1_sel:DWORD
	s_and_b64 vcc, exec, s[4:5]
	s_cbranch_vccz .LBB8_1654
; %bb.1653:
	global_load_sbyte v4, v[2:3], off
	s_mov_b64 s[4:5], 0
	s_waitcnt vmcnt(0)
	v_cvt_f64_i32_e32 v[46:47], v4
	s_branch .LBB8_1655
.LBB8_1654:
	s_mov_b64 s[4:5], -1
                                        ; implicit-def: $vgpr46_vgpr47
.LBB8_1655:
	s_andn2_b64 vcc, exec, s[4:5]
	s_cbranch_vccnz .LBB8_1657
; %bb.1656:
	global_load_ubyte v2, v[2:3], off
	s_waitcnt vmcnt(0)
	v_cvt_f64_u32_e32 v[46:47], v2
.LBB8_1657:
	s_mov_b64 s[8:9], -1
.LBB8_1658:
	s_andn2_b64 vcc, exec, s[8:9]
	s_cbranch_vccnz .LBB8_2112
; %bb.1659:
	s_lshr_b32 s38, s16, 8
	s_getpc_b64 s[4:5]
	s_add_u32 s4, s4, _Z17bessel_j1_forwardIdET_S0_@rel32@lo+4
	s_addc_u32 s5, s5, _Z17bessel_j1_forwardIdET_S0_@rel32@hi+12
	s_swappc_b64 s[30:31], s[4:5]
	v_mov_b32_e32 v2, s41
	v_add_co_u32_e32 v4, vcc, s40, v62
	v_addc_co_u32_e32 v5, vcc, 0, v2, vcc
	v_mov_b32_e32 v2, 11
	v_cmp_lt_i16_sdwa s[4:5], s38, v2 src0_sel:BYTE_0 src1_sel:DWORD
	s_and_b64 vcc, exec, s[4:5]
	s_cbranch_vccnz .LBB8_1666
; %bb.1660:
	v_mov_b32_e32 v2, 25
	v_cmp_gt_i16_sdwa s[4:5], s38, v2 src0_sel:BYTE_0 src1_sel:DWORD
	s_mov_b64 s[10:11], -1
	s_mov_b64 s[6:7], 0
	s_and_b64 vcc, exec, s[4:5]
	s_mov_b64 s[8:9], 0
	s_mov_b64 s[4:5], 0
	s_cbranch_vccz .LBB8_1698
; %bb.1661:
	v_mov_b32_e32 v2, 28
	v_cmp_gt_i16_sdwa s[4:5], s38, v2 src0_sel:BYTE_0 src1_sel:DWORD
	s_and_b64 vcc, exec, s[4:5]
	s_cbranch_vccz .LBB8_1667
; %bb.1662:
	v_mov_b32_e32 v2, 43
	v_cmp_gt_i16_sdwa s[4:5], s38, v2 src0_sel:BYTE_0 src1_sel:DWORD
	s_and_b64 vcc, exec, s[4:5]
	;; [unrolled: 5-line block ×3, first 2 shown]
	s_cbranch_vccz .LBB8_1670
; %bb.1664:
	v_mov_b32_e32 v2, 46
	v_cmp_eq_u16_sdwa s[8:9], s38, v2 src0_sel:BYTE_0 src1_sel:DWORD
	s_mov_b64 s[4:5], -1
	s_mov_b64 s[10:11], 0
	s_and_b64 vcc, exec, s[8:9]
	s_mov_b64 s[8:9], 0
	s_cbranch_vccz .LBB8_1671
; %bb.1665:
	v_cvt_f32_f64_e32 v2, v[0:1]
	v_bfe_u32 v3, v2, 16, 1
	s_movk_i32 s4, 0x7fff
	v_add3_u32 v3, v2, v3, s4
	v_lshrrev_b32_e32 v3, 16, v3
	v_mov_b32_e32 v6, 0x7fc0
	v_cmp_o_f32_e32 vcc, v2, v2
	v_cndmask_b32_e32 v2, v6, v3, vcc
	global_store_dword v[4:5], v2, off
	s_mov_b64 s[4:5], 0
	s_mov_b64 s[8:9], -1
	s_branch .LBB8_1671
.LBB8_1666:
	s_mov_b64 s[4:5], -1
	s_mov_b64 s[8:9], 0
	s_branch .LBB8_1742
.LBB8_1667:
	s_mov_b64 s[4:5], 0
	s_branch .LBB8_1681
.LBB8_1668:
	s_mov_b64 s[4:5], 0
	s_branch .LBB8_1677
.LBB8_1669:
	s_trap 2
	s_or_b64 s[36:37], s[36:37], exec
                                        ; implicit-def: $vgpr46_vgpr47
	s_cbranch_execz .LBB8_1607
	s_branch .LBB8_1608
.LBB8_1670:
	s_mov_b64 s[4:5], 0
.LBB8_1671:
	s_and_b64 vcc, exec, s[10:11]
	s_cbranch_vccz .LBB8_1676
; %bb.1672:
	v_mov_b32_e32 v2, 44
	v_cmp_eq_u16_sdwa s[10:11], s38, v2 src0_sel:BYTE_0 src1_sel:DWORD
	s_mov_b64 s[4:5], -1
	s_and_b64 vcc, exec, s[10:11]
	s_cbranch_vccz .LBB8_1676
; %bb.1673:
	v_cvt_f32_f64_e32 v2, v[0:1]
	v_bfe_u32 v3, v2, 23, 8
	s_movk_i32 s4, 0xff
	v_cmp_ne_u32_e32 vcc, s4, v3
	v_mov_b32_e32 v6, 0xff
	s_and_saveexec_b64 s[8:9], vcc
; %bb.1674:
	s_mov_b32 s4, 0x3fffff
	v_lshrrev_b32_e32 v6, 23, v2
	v_and_b32_e32 v7, 0x400000, v2
	v_and_or_b32 v2, v2, s4, v3
	v_cmp_ne_u32_e32 vcc, 0, v7
	v_cmp_ne_u32_e64 s[4:5], 0, v2
	s_and_b64 s[4:5], vcc, s[4:5]
	v_cndmask_b32_e64 v2, 0, 1, s[4:5]
	v_add_u32_e32 v6, v6, v2
; %bb.1675:
	s_or_b64 exec, exec, s[8:9]
	s_mov_b64 s[4:5], 0
	s_mov_b64 s[8:9], -1
	global_store_byte v[4:5], v6, off
.LBB8_1676:
	s_mov_b64 s[10:11], 0
.LBB8_1677:
	s_and_b64 vcc, exec, s[10:11]
	s_cbranch_vccz .LBB8_1680
; %bb.1678:
	v_mov_b32_e32 v2, 29
	v_cmp_eq_u16_sdwa s[10:11], s38, v2 src0_sel:BYTE_0 src1_sel:DWORD
	s_mov_b64 s[4:5], -1
	s_and_b64 vcc, exec, s[10:11]
	s_cbranch_vccz .LBB8_1680
; %bb.1679:
	v_trunc_f64_e32 v[2:3], v[0:1]
	s_movk_i32 s4, 0xffe0
	v_ldexp_f64 v[6:7], v[2:3], s4
	v_floor_f64_e32 v[6:7], v[6:7]
	v_fmac_f64_e32 v[2:3], 0xc1f00000, v[6:7]
	v_cvt_u32_f64_e32 v9, v[6:7]
	v_cvt_u32_f64_e32 v8, v[2:3]
	global_store_dwordx2 v[4:5], v[8:9], off
	s_mov_b64 s[4:5], 0
	s_mov_b64 s[8:9], -1
.LBB8_1680:
	s_mov_b64 s[10:11], 0
.LBB8_1681:
	s_and_b64 vcc, exec, s[10:11]
	s_cbranch_vccz .LBB8_1697
; %bb.1682:
	v_mov_b32_e32 v2, 27
	v_cmp_lt_i16_sdwa s[10:11], s38, v2 src0_sel:BYTE_0 src1_sel:DWORD
	s_mov_b64 s[8:9], -1
	s_and_b64 vcc, exec, s[10:11]
	s_cbranch_vccnz .LBB8_1688
; %bb.1683:
	v_cmp_gt_i16_sdwa s[10:11], s38, v2 src0_sel:BYTE_0 src1_sel:DWORD
	s_and_b64 vcc, exec, s[10:11]
	v_cvt_u32_f64_e32 v2, v[0:1]
	s_cbranch_vccz .LBB8_1685
; %bb.1684:
	s_mov_b64 s[8:9], 0
	global_store_dword v[4:5], v2, off
.LBB8_1685:
	s_andn2_b64 vcc, exec, s[8:9]
	s_cbranch_vccnz .LBB8_1687
; %bb.1686:
	global_store_short v[4:5], v2, off
.LBB8_1687:
	s_mov_b64 s[8:9], 0
.LBB8_1688:
	s_andn2_b64 vcc, exec, s[8:9]
	s_cbranch_vccnz .LBB8_1696
; %bb.1689:
	v_cvt_f32_f64_e32 v2, v[0:1]
	v_and_b32_e32 v3, 0x7fffffff, v2
	s_mov_b32 s8, 0x43800000
	v_cmp_gt_u32_e32 vcc, s8, v3
	v_mov_b32_e32 v6, 0x80
	s_and_saveexec_b64 s[8:9], vcc
	s_cbranch_execz .LBB8_1695
; %bb.1690:
	s_mov_b32 s10, 0x3bffffff
	v_cmp_lt_u32_e32 vcc, s10, v3
	s_mov_b64 s[10:11], 0
                                        ; implicit-def: $vgpr3
	s_and_saveexec_b64 s[12:13], vcc
	s_xor_b64 s[12:13], exec, s[12:13]
	s_cbranch_execz .LBB8_1791
; %bb.1691:
	v_bfe_u32 v3, v2, 20, 1
	s_mov_b32 s14, 0x487ffff
	v_add3_u32 v3, v2, v3, s14
	s_mov_b64 s[10:11], exec
	v_lshrrev_b32_e32 v3, 20, v3
	s_or_saveexec_b64 s[12:13], s[12:13]
                                        ; implicit-def: $sgpr14
	s_xor_b64 exec, exec, s[12:13]
	s_cbranch_execnz .LBB8_1792
.LBB8_1692:
	s_or_b64 exec, exec, s[12:13]
	v_mov_b32_e32 v6, s14
	s_and_saveexec_b64 s[12:13], s[10:11]
.LBB8_1693:
	v_lshrrev_b32_e32 v2, 24, v2
	s_movk_i32 s10, 0x80
	v_and_or_b32 v6, v2, s10, v3
.LBB8_1694:
	s_or_b64 exec, exec, s[12:13]
.LBB8_1695:
	s_or_b64 exec, exec, s[8:9]
	global_store_byte v[4:5], v6, off
.LBB8_1696:
	s_mov_b64 s[8:9], -1
.LBB8_1697:
	s_mov_b64 s[10:11], 0
.LBB8_1698:
	s_and_b64 vcc, exec, s[10:11]
	s_cbranch_vccz .LBB8_1738
; %bb.1699:
	v_mov_b32_e32 v2, 22
	v_cmp_gt_i16_sdwa s[10:11], s38, v2 src0_sel:BYTE_0 src1_sel:DWORD
	s_mov_b64 s[6:7], -1
	s_and_b64 vcc, exec, s[10:11]
	s_cbranch_vccz .LBB8_1731
; %bb.1700:
	v_mov_b32_e32 v2, 24
	v_cmp_lt_i16_sdwa s[8:9], s38, v2 src0_sel:BYTE_0 src1_sel:DWORD
	s_and_b64 vcc, exec, s[8:9]
	s_cbranch_vccnz .LBB8_1720
; %bb.1701:
	v_cmp_gt_i16_sdwa s[8:9], s38, v2 src0_sel:BYTE_0 src1_sel:DWORD
	s_and_b64 vcc, exec, s[8:9]
	s_cbranch_vccz .LBB8_1709
; %bb.1702:
	v_cvt_f32_f64_e32 v2, v[0:1]
	v_and_b32_e32 v3, 0x7fffffff, v2
	s_mov_b32 s6, 0x47800000
	v_cmp_gt_u32_e32 vcc, s6, v3
	v_mov_b32_e32 v6, 0x80
	s_and_saveexec_b64 s[6:7], vcc
	s_cbranch_execz .LBB8_1708
; %bb.1703:
	s_mov_b32 s8, 0x37ffffff
	v_cmp_lt_u32_e32 vcc, s8, v3
	s_mov_b64 s[8:9], 0
                                        ; implicit-def: $vgpr3
	s_and_saveexec_b64 s[10:11], vcc
	s_xor_b64 s[10:11], exec, s[10:11]
	s_cbranch_execz .LBB8_1795
; %bb.1704:
	v_bfe_u32 v3, v2, 21, 1
	s_mov_b32 s12, 0x88fffff
	v_add3_u32 v3, v2, v3, s12
	s_mov_b64 s[8:9], exec
	v_lshrrev_b32_e32 v3, 21, v3
	s_or_saveexec_b64 s[10:11], s[10:11]
                                        ; implicit-def: $sgpr12
	s_xor_b64 exec, exec, s[10:11]
	s_cbranch_execnz .LBB8_1796
.LBB8_1705:
	s_or_b64 exec, exec, s[10:11]
	v_mov_b32_e32 v6, s12
	s_and_saveexec_b64 s[10:11], s[8:9]
.LBB8_1706:
	v_lshrrev_b32_e32 v2, 24, v2
	s_movk_i32 s8, 0x80
	v_and_or_b32 v6, v2, s8, v3
.LBB8_1707:
	s_or_b64 exec, exec, s[10:11]
.LBB8_1708:
	s_or_b64 exec, exec, s[6:7]
	s_mov_b64 s[6:7], 0
	global_store_byte v[4:5], v6, off
.LBB8_1709:
	s_and_b64 vcc, exec, s[6:7]
	s_cbranch_vccz .LBB8_1719
; %bb.1710:
	v_cvt_f32_f64_e32 v2, v[0:1]
	v_and_b32_e32 v6, 0x7fffffff, v2
	s_mov_b32 s6, 0x43f00000
	v_cmp_gt_u32_e32 vcc, s6, v6
                                        ; implicit-def: $vgpr3
	s_and_saveexec_b64 s[6:7], vcc
	s_xor_b64 s[6:7], exec, s[6:7]
	s_cbranch_execz .LBB8_1716
; %bb.1711:
	s_mov_b32 s8, 0x3c7fffff
	v_cmp_lt_u32_e32 vcc, s8, v6
                                        ; implicit-def: $vgpr3
	s_and_saveexec_b64 s[8:9], vcc
	s_xor_b64 s[8:9], exec, s[8:9]
; %bb.1712:
	v_bfe_u32 v3, v2, 20, 1
	s_mov_b32 s10, 0x407ffff
	v_add3_u32 v3, v2, v3, s10
	v_lshrrev_b32_e32 v6, 20, v3
	v_and_b32_e32 v3, 0xff00000, v3
	s_mov_b32 s10, 0x7f00000
	v_mov_b32_e32 v7, 0x7e
	v_cmp_ne_u32_e32 vcc, s10, v3
	v_cndmask_b32_e32 v3, v7, v6, vcc
; %bb.1713:
	s_andn2_saveexec_b64 s[8:9], s[8:9]
; %bb.1714:
	s_mov_b32 s10, 0x46800000
	v_add_f32_e64 v3, |v2|, s10
; %bb.1715:
	s_or_b64 exec, exec, s[8:9]
                                        ; implicit-def: $vgpr6
.LBB8_1716:
	s_andn2_saveexec_b64 s[6:7], s[6:7]
; %bb.1717:
	s_mov_b32 s8, 0x7f800000
	v_mov_b32_e32 v3, 0x7e
	v_mov_b32_e32 v7, 0x7f
	v_cmp_lt_u32_e32 vcc, s8, v6
	v_cndmask_b32_e32 v3, v3, v7, vcc
; %bb.1718:
	s_or_b64 exec, exec, s[6:7]
	v_lshrrev_b32_e32 v2, 24, v2
	s_movk_i32 s6, 0x80
	v_and_or_b32 v2, v2, s6, v3
	global_store_byte v[4:5], v2, off
.LBB8_1719:
	s_mov_b64 s[6:7], 0
.LBB8_1720:
	s_andn2_b64 vcc, exec, s[6:7]
	s_cbranch_vccnz .LBB8_1730
; %bb.1721:
	v_cvt_f32_f64_e32 v2, v[0:1]
	v_and_b32_e32 v6, 0x7fffffff, v2
	s_mov_b32 s6, 0x47800000
	v_cmp_gt_u32_e32 vcc, s6, v6
                                        ; implicit-def: $vgpr3
	s_and_saveexec_b64 s[6:7], vcc
	s_xor_b64 s[6:7], exec, s[6:7]
	s_cbranch_execz .LBB8_1727
; %bb.1722:
	s_mov_b32 s8, 0x387fffff
	v_cmp_lt_u32_e32 vcc, s8, v6
                                        ; implicit-def: $vgpr3
	s_and_saveexec_b64 s[8:9], vcc
	s_xor_b64 s[8:9], exec, s[8:9]
; %bb.1723:
	v_bfe_u32 v3, v2, 21, 1
	s_mov_b32 s10, 0x80fffff
	v_add3_u32 v3, v2, v3, s10
	v_lshrrev_b32_e32 v3, 21, v3
; %bb.1724:
	s_andn2_saveexec_b64 s[8:9], s[8:9]
; %bb.1725:
	s_mov_b32 s10, 0x43000000
	v_add_f32_e64 v3, |v2|, s10
; %bb.1726:
	s_or_b64 exec, exec, s[8:9]
                                        ; implicit-def: $vgpr6
.LBB8_1727:
	s_andn2_saveexec_b64 s[6:7], s[6:7]
; %bb.1728:
	s_mov_b32 s8, 0x7f800000
	v_mov_b32_e32 v3, 0x7c
	v_mov_b32_e32 v7, 0x7f
	v_cmp_lt_u32_e32 vcc, s8, v6
	v_cndmask_b32_e32 v3, v3, v7, vcc
; %bb.1729:
	s_or_b64 exec, exec, s[6:7]
	v_lshrrev_b32_e32 v2, 24, v2
	s_movk_i32 s6, 0x80
	v_and_or_b32 v2, v2, s6, v3
	global_store_byte v[4:5], v2, off
.LBB8_1730:
	s_mov_b64 s[6:7], 0
	s_mov_b64 s[8:9], -1
.LBB8_1731:
	s_andn2_b64 vcc, exec, s[6:7]
	s_mov_b64 s[6:7], 0
	s_cbranch_vccnz .LBB8_1738
; %bb.1732:
	v_mov_b32_e32 v2, 14
	v_cmp_gt_i16_sdwa s[6:7], s38, v2 src0_sel:BYTE_0 src1_sel:DWORD
	s_mov_b64 s[10:11], -1
	s_and_b64 vcc, exec, s[6:7]
	s_cbranch_vccz .LBB8_1736
; %bb.1733:
	v_mov_b32_e32 v2, 15
	v_cmp_eq_u16_sdwa s[6:7], s38, v2 src0_sel:BYTE_0 src1_sel:DWORD
	s_mov_b64 s[4:5], -1
	s_and_b64 vcc, exec, s[6:7]
	s_cbranch_vccz .LBB8_1735
; %bb.1734:
	v_cvt_f32_f64_e32 v2, v[0:1]
	v_bfe_u32 v3, v2, 16, 1
	s_movk_i32 s4, 0x7fff
	v_add3_u32 v3, v2, v3, s4
	v_lshrrev_b32_e32 v3, 16, v3
	v_mov_b32_e32 v6, 0x7fc0
	v_cmp_o_f32_e32 vcc, v2, v2
	v_cndmask_b32_e32 v2, v6, v3, vcc
	global_store_short v[4:5], v2, off
	s_mov_b64 s[4:5], 0
	s_mov_b64 s[8:9], -1
.LBB8_1735:
	s_mov_b64 s[10:11], 0
.LBB8_1736:
	s_mov_b64 s[6:7], 0
	s_and_b64 vcc, exec, s[10:11]
	s_cbranch_vccz .LBB8_1738
; %bb.1737:
	v_mov_b32_e32 v2, 11
	v_cmp_ne_u16_sdwa s[4:5], s38, v2 src0_sel:BYTE_0 src1_sel:DWORD
	s_mov_b64 s[6:7], -1
.LBB8_1738:
	s_and_b64 vcc, exec, s[4:5]
	s_cbranch_vccnz .LBB8_1794
; %bb.1739:
	s_andn2_b64 vcc, exec, s[6:7]
	s_cbranch_vccnz .LBB8_1741
.LBB8_1740:
	v_cmp_neq_f64_e32 vcc, 0, v[0:1]
	v_cndmask_b32_e64 v2, 0, 1, vcc
	s_mov_b64 s[8:9], -1
	global_store_byte v[4:5], v2, off
.LBB8_1741:
	s_mov_b64 s[4:5], 0
.LBB8_1742:
	s_and_b64 vcc, exec, s[4:5]
	s_cbranch_vccz .LBB8_1781
; %bb.1743:
	v_mov_b32_e32 v2, 5
	v_cmp_lt_i16_sdwa s[6:7], s38, v2 src0_sel:BYTE_0 src1_sel:DWORD
	s_mov_b64 s[4:5], -1
	s_and_b64 vcc, exec, s[6:7]
	s_cbranch_vccnz .LBB8_1764
; %bb.1744:
	v_mov_b32_e32 v2, 8
	v_cmp_lt_i16_sdwa s[6:7], s38, v2 src0_sel:BYTE_0 src1_sel:DWORD
	s_and_b64 vcc, exec, s[6:7]
	s_cbranch_vccnz .LBB8_1754
; %bb.1745:
	v_mov_b32_e32 v2, 9
	v_cmp_lt_i16_sdwa s[6:7], s38, v2 src0_sel:BYTE_0 src1_sel:DWORD
	s_and_b64 vcc, exec, s[6:7]
	s_cbranch_vccnz .LBB8_1751
; %bb.1746:
	v_cmp_gt_i16_sdwa s[6:7], s38, v2 src0_sel:BYTE_0 src1_sel:DWORD
	s_and_b64 vcc, exec, s[6:7]
	s_cbranch_vccz .LBB8_1748
; %bb.1747:
	v_mov_b32_e32 v2, 0
	v_mov_b32_e32 v3, v2
	global_store_dwordx4 v[4:5], v[0:3], off
	s_mov_b64 s[4:5], 0
.LBB8_1748:
	s_andn2_b64 vcc, exec, s[4:5]
	s_cbranch_vccnz .LBB8_1750
; %bb.1749:
	v_cvt_f32_f64_e32 v2, v[0:1]
	v_mov_b32_e32 v3, 0
	global_store_dwordx2 v[4:5], v[2:3], off
.LBB8_1750:
	s_mov_b64 s[4:5], 0
.LBB8_1751:
	s_andn2_b64 vcc, exec, s[4:5]
	s_cbranch_vccnz .LBB8_1753
; %bb.1752:
	v_cvt_f32_f64_e32 v2, v[0:1]
	v_cvt_f16_f32_e32 v2, v2
	global_store_dword v[4:5], v2, off
.LBB8_1753:
	s_mov_b64 s[4:5], 0
.LBB8_1754:
	s_andn2_b64 vcc, exec, s[4:5]
	s_cbranch_vccnz .LBB8_1763
; %bb.1755:
	v_mov_b32_e32 v2, 6
	v_cmp_lt_i16_sdwa s[6:7], s38, v2 src0_sel:BYTE_0 src1_sel:DWORD
	s_mov_b64 s[4:5], -1
	s_and_b64 vcc, exec, s[6:7]
	s_cbranch_vccnz .LBB8_1761
; %bb.1756:
	v_cmp_gt_i16_sdwa s[6:7], s38, v2 src0_sel:BYTE_0 src1_sel:DWORD
	s_and_b64 vcc, exec, s[6:7]
	s_cbranch_vccz .LBB8_1758
; %bb.1757:
	global_store_dwordx2 v[4:5], v[0:1], off
	s_mov_b64 s[4:5], 0
.LBB8_1758:
	s_andn2_b64 vcc, exec, s[4:5]
	s_cbranch_vccnz .LBB8_1760
; %bb.1759:
	v_cvt_f32_f64_e32 v2, v[0:1]
	global_store_dword v[4:5], v2, off
.LBB8_1760:
	s_mov_b64 s[4:5], 0
.LBB8_1761:
	s_andn2_b64 vcc, exec, s[4:5]
	s_cbranch_vccnz .LBB8_1763
; %bb.1762:
	v_cvt_f32_f64_e32 v2, v[0:1]
	v_cvt_f16_f32_e32 v2, v2
	global_store_short v[4:5], v2, off
.LBB8_1763:
	s_mov_b64 s[4:5], 0
.LBB8_1764:
	s_andn2_b64 vcc, exec, s[4:5]
	s_cbranch_vccnz .LBB8_1780
; %bb.1765:
	v_mov_b32_e32 v2, 2
	v_cmp_lt_i16_sdwa s[6:7], s38, v2 src0_sel:BYTE_0 src1_sel:DWORD
	s_mov_b64 s[4:5], -1
	s_and_b64 vcc, exec, s[6:7]
	s_cbranch_vccnz .LBB8_1775
; %bb.1766:
	v_mov_b32_e32 v2, 3
	v_cmp_lt_i16_sdwa s[6:7], s38, v2 src0_sel:BYTE_0 src1_sel:DWORD
	s_and_b64 vcc, exec, s[6:7]
	s_cbranch_vccnz .LBB8_1772
; %bb.1767:
	v_cmp_gt_i16_sdwa s[6:7], s38, v2 src0_sel:BYTE_0 src1_sel:DWORD
	s_and_b64 vcc, exec, s[6:7]
	s_cbranch_vccz .LBB8_1769
; %bb.1768:
	v_trunc_f64_e32 v[2:3], v[0:1]
	s_movk_i32 s4, 0xffe0
	v_ldexp_f64 v[6:7], v[2:3], s4
	v_floor_f64_e32 v[6:7], v[6:7]
	v_fmac_f64_e32 v[2:3], 0xc1f00000, v[6:7]
	v_cvt_i32_f64_e32 v9, v[6:7]
	v_cvt_u32_f64_e32 v8, v[2:3]
	global_store_dwordx2 v[4:5], v[8:9], off
	s_mov_b64 s[4:5], 0
.LBB8_1769:
	s_andn2_b64 vcc, exec, s[4:5]
	s_cbranch_vccnz .LBB8_1771
; %bb.1770:
	v_cvt_i32_f64_e32 v2, v[0:1]
	global_store_dword v[4:5], v2, off
.LBB8_1771:
	s_mov_b64 s[4:5], 0
.LBB8_1772:
	s_andn2_b64 vcc, exec, s[4:5]
	s_cbranch_vccnz .LBB8_1774
; %bb.1773:
	v_cvt_i32_f64_e32 v2, v[0:1]
	global_store_short v[4:5], v2, off
.LBB8_1774:
	s_mov_b64 s[4:5], 0
.LBB8_1775:
	s_andn2_b64 vcc, exec, s[4:5]
	s_cbranch_vccnz .LBB8_1780
; %bb.1776:
	v_mov_b32_e32 v2, 0
	v_cmp_gt_i16_sdwa s[6:7], s38, v2 src0_sel:BYTE_0 src1_sel:DWORD
	s_mov_b64 s[4:5], -1
	s_and_b64 vcc, exec, s[6:7]
	s_cbranch_vccz .LBB8_1778
; %bb.1777:
	v_cvt_i32_f64_e32 v2, v[0:1]
	global_store_byte v[4:5], v2, off
	s_mov_b64 s[4:5], 0
.LBB8_1778:
	s_andn2_b64 vcc, exec, s[4:5]
	s_cbranch_vccnz .LBB8_1780
; %bb.1779:
	v_trunc_f64_e32 v[0:1], v[0:1]
	s_movk_i32 s4, 0xffe0
	v_ldexp_f64 v[2:3], v[0:1], s4
	v_floor_f64_e32 v[2:3], v[2:3]
	v_fmac_f64_e32 v[0:1], 0xc1f00000, v[2:3]
	v_cvt_u32_f64_e32 v0, v[0:1]
	global_store_byte v[4:5], v0, off
.LBB8_1780:
	s_mov_b64 s[8:9], -1
.LBB8_1781:
	s_andn2_b64 vcc, exec, s[8:9]
	s_cbranch_vccnz .LBB8_2112
; %bb.1782:
	v_mov_b32_e32 v0, v42
	v_mov_b32_e32 v1, v43
	s_getpc_b64 s[4:5]
	s_add_u32 s4, s4, _Z17bessel_j1_forwardIdET_S0_@rel32@lo+4
	s_addc_u32 s5, s5, _Z17bessel_j1_forwardIdET_S0_@rel32@hi+12
	s_swappc_b64 s[30:31], s[4:5]
	v_mov_b32_e32 v2, s41
	v_add_co_u32_e32 v4, vcc, s40, v60
	v_addc_co_u32_e32 v5, vcc, 0, v2, vcc
	v_mov_b32_e32 v2, 11
	v_cmp_lt_i16_sdwa s[4:5], s38, v2 src0_sel:BYTE_0 src1_sel:DWORD
	s_and_b64 vcc, exec, s[4:5]
	s_cbranch_vccnz .LBB8_1789
; %bb.1783:
	v_mov_b32_e32 v2, 25
	v_cmp_gt_i16_sdwa s[4:5], s38, v2 src0_sel:BYTE_0 src1_sel:DWORD
	s_mov_b64 s[10:11], -1
	s_mov_b64 s[6:7], 0
	s_and_b64 vcc, exec, s[4:5]
	s_mov_b64 s[8:9], 0
	s_mov_b64 s[4:5], 0
	s_cbranch_vccz .LBB8_1825
; %bb.1784:
	v_mov_b32_e32 v2, 28
	v_cmp_gt_i16_sdwa s[4:5], s38, v2 src0_sel:BYTE_0 src1_sel:DWORD
	s_and_b64 vcc, exec, s[4:5]
	s_cbranch_vccz .LBB8_1790
; %bb.1785:
	v_mov_b32_e32 v2, 43
	v_cmp_gt_i16_sdwa s[4:5], s38, v2 src0_sel:BYTE_0 src1_sel:DWORD
	s_and_b64 vcc, exec, s[4:5]
	;; [unrolled: 5-line block ×3, first 2 shown]
	s_cbranch_vccz .LBB8_1797
; %bb.1787:
	v_mov_b32_e32 v2, 46
	v_cmp_eq_u16_sdwa s[8:9], s38, v2 src0_sel:BYTE_0 src1_sel:DWORD
	s_mov_b64 s[4:5], -1
	s_mov_b64 s[10:11], 0
	s_and_b64 vcc, exec, s[8:9]
	s_mov_b64 s[8:9], 0
	s_cbranch_vccz .LBB8_1798
; %bb.1788:
	v_cvt_f32_f64_e32 v2, v[0:1]
	v_bfe_u32 v3, v2, 16, 1
	s_movk_i32 s4, 0x7fff
	v_add3_u32 v3, v2, v3, s4
	v_lshrrev_b32_e32 v3, 16, v3
	v_mov_b32_e32 v6, 0x7fc0
	v_cmp_o_f32_e32 vcc, v2, v2
	v_cndmask_b32_e32 v2, v6, v3, vcc
	global_store_dword v[4:5], v2, off
	s_mov_b64 s[4:5], 0
	s_mov_b64 s[8:9], -1
	s_branch .LBB8_1798
.LBB8_1789:
	s_mov_b64 s[4:5], -1
	s_mov_b64 s[8:9], 0
	s_branch .LBB8_1869
.LBB8_1790:
	s_mov_b64 s[4:5], 0
	s_branch .LBB8_1808
.LBB8_1791:
	s_or_saveexec_b64 s[12:13], s[12:13]
                                        ; implicit-def: $sgpr14
	s_xor_b64 exec, exec, s[12:13]
	s_cbranch_execz .LBB8_1692
.LBB8_1792:
	s_mov_b32 s14, 0x46000000
	v_add_f32_e64 v3, |v2|, s14
	v_and_b32_e32 v3, 0xff, v3
	v_cmp_ne_u32_e32 vcc, 0, v3
	s_andn2_b64 s[10:11], s[10:11], exec
	s_and_b64 s[16:17], vcc, exec
	s_mov_b32 s14, 0
	s_or_b64 s[10:11], s[10:11], s[16:17]
	s_or_b64 exec, exec, s[12:13]
	v_mov_b32_e32 v6, s14
	s_and_saveexec_b64 s[12:13], s[10:11]
	s_cbranch_execnz .LBB8_1693
	s_branch .LBB8_1694
.LBB8_1793:
	s_mov_b64 s[4:5], 0
	s_branch .LBB8_1804
.LBB8_1794:
	s_trap 2
	s_or_b64 s[36:37], s[36:37], exec
	s_cbranch_execz .LBB8_1740
	s_branch .LBB8_1741
.LBB8_1795:
	s_or_saveexec_b64 s[10:11], s[10:11]
                                        ; implicit-def: $sgpr12
	s_xor_b64 exec, exec, s[10:11]
	s_cbranch_execz .LBB8_1705
.LBB8_1796:
	s_mov_b32 s12, 0x42800000
	v_add_f32_e64 v3, |v2|, s12
	v_and_b32_e32 v3, 0xff, v3
	v_cmp_ne_u32_e32 vcc, 0, v3
	s_andn2_b64 s[8:9], s[8:9], exec
	s_and_b64 s[14:15], vcc, exec
	s_mov_b32 s12, 0
	s_or_b64 s[8:9], s[8:9], s[14:15]
	s_or_b64 exec, exec, s[10:11]
	v_mov_b32_e32 v6, s12
	s_and_saveexec_b64 s[10:11], s[8:9]
	s_cbranch_execnz .LBB8_1706
	s_branch .LBB8_1707
.LBB8_1797:
	s_mov_b64 s[4:5], 0
.LBB8_1798:
	s_and_b64 vcc, exec, s[10:11]
	s_cbranch_vccz .LBB8_1803
; %bb.1799:
	v_mov_b32_e32 v2, 44
	v_cmp_eq_u16_sdwa s[10:11], s38, v2 src0_sel:BYTE_0 src1_sel:DWORD
	s_mov_b64 s[4:5], -1
	s_and_b64 vcc, exec, s[10:11]
	s_cbranch_vccz .LBB8_1803
; %bb.1800:
	v_cvt_f32_f64_e32 v2, v[0:1]
	v_bfe_u32 v3, v2, 23, 8
	s_movk_i32 s4, 0xff
	v_cmp_ne_u32_e32 vcc, s4, v3
	v_mov_b32_e32 v6, 0xff
	s_and_saveexec_b64 s[8:9], vcc
; %bb.1801:
	s_mov_b32 s4, 0x3fffff
	v_lshrrev_b32_e32 v6, 23, v2
	v_and_b32_e32 v7, 0x400000, v2
	v_and_or_b32 v2, v2, s4, v3
	v_cmp_ne_u32_e32 vcc, 0, v7
	v_cmp_ne_u32_e64 s[4:5], 0, v2
	s_and_b64 s[4:5], vcc, s[4:5]
	v_cndmask_b32_e64 v2, 0, 1, s[4:5]
	v_add_u32_e32 v6, v6, v2
; %bb.1802:
	s_or_b64 exec, exec, s[8:9]
	s_mov_b64 s[4:5], 0
	s_mov_b64 s[8:9], -1
	global_store_byte v[4:5], v6, off
.LBB8_1803:
	s_mov_b64 s[10:11], 0
.LBB8_1804:
	s_and_b64 vcc, exec, s[10:11]
	s_cbranch_vccz .LBB8_1807
; %bb.1805:
	v_mov_b32_e32 v2, 29
	v_cmp_eq_u16_sdwa s[10:11], s38, v2 src0_sel:BYTE_0 src1_sel:DWORD
	s_mov_b64 s[4:5], -1
	s_and_b64 vcc, exec, s[10:11]
	s_cbranch_vccz .LBB8_1807
; %bb.1806:
	v_trunc_f64_e32 v[2:3], v[0:1]
	s_movk_i32 s4, 0xffe0
	v_ldexp_f64 v[6:7], v[2:3], s4
	v_floor_f64_e32 v[6:7], v[6:7]
	v_fmac_f64_e32 v[2:3], 0xc1f00000, v[6:7]
	v_cvt_u32_f64_e32 v9, v[6:7]
	v_cvt_u32_f64_e32 v8, v[2:3]
	global_store_dwordx2 v[4:5], v[8:9], off
	s_mov_b64 s[4:5], 0
	s_mov_b64 s[8:9], -1
.LBB8_1807:
	s_mov_b64 s[10:11], 0
.LBB8_1808:
	s_and_b64 vcc, exec, s[10:11]
	s_cbranch_vccz .LBB8_1824
; %bb.1809:
	v_mov_b32_e32 v2, 27
	v_cmp_lt_i16_sdwa s[10:11], s38, v2 src0_sel:BYTE_0 src1_sel:DWORD
	s_mov_b64 s[8:9], -1
	s_and_b64 vcc, exec, s[10:11]
	s_cbranch_vccnz .LBB8_1815
; %bb.1810:
	v_cmp_gt_i16_sdwa s[10:11], s38, v2 src0_sel:BYTE_0 src1_sel:DWORD
	s_and_b64 vcc, exec, s[10:11]
	s_cbranch_vccz .LBB8_1812
; %bb.1811:
	v_cvt_u32_f64_e32 v2, v[0:1]
	s_mov_b64 s[8:9], 0
	global_store_dword v[4:5], v2, off
.LBB8_1812:
	s_andn2_b64 vcc, exec, s[8:9]
	s_cbranch_vccnz .LBB8_1814
; %bb.1813:
	v_cvt_u32_f64_e32 v2, v[0:1]
	global_store_short v[4:5], v2, off
.LBB8_1814:
	s_mov_b64 s[8:9], 0
.LBB8_1815:
	s_andn2_b64 vcc, exec, s[8:9]
	s_cbranch_vccnz .LBB8_1823
; %bb.1816:
	v_cvt_f32_f64_e32 v2, v[0:1]
	v_and_b32_e32 v3, 0x7fffffff, v2
	s_mov_b32 s8, 0x43800000
	v_cmp_gt_u32_e32 vcc, s8, v3
	v_mov_b32_e32 v6, 0x80
	s_and_saveexec_b64 s[8:9], vcc
	s_cbranch_execz .LBB8_1822
; %bb.1817:
	s_mov_b32 s10, 0x3bffffff
	v_cmp_lt_u32_e32 vcc, s10, v3
	s_mov_b64 s[10:11], 0
                                        ; implicit-def: $vgpr3
	s_and_saveexec_b64 s[12:13], vcc
	s_xor_b64 s[12:13], exec, s[12:13]
	s_cbranch_execz .LBB8_1918
; %bb.1818:
	v_bfe_u32 v3, v2, 20, 1
	s_mov_b32 s14, 0x487ffff
	v_add3_u32 v3, v2, v3, s14
	s_mov_b64 s[10:11], exec
	v_lshrrev_b32_e32 v3, 20, v3
	s_or_saveexec_b64 s[12:13], s[12:13]
                                        ; implicit-def: $sgpr14
	s_xor_b64 exec, exec, s[12:13]
	s_cbranch_execnz .LBB8_1919
.LBB8_1819:
	s_or_b64 exec, exec, s[12:13]
	v_mov_b32_e32 v6, s14
	s_and_saveexec_b64 s[12:13], s[10:11]
.LBB8_1820:
	v_lshrrev_b32_e32 v2, 24, v2
	s_movk_i32 s10, 0x80
	v_and_or_b32 v6, v2, s10, v3
.LBB8_1821:
	s_or_b64 exec, exec, s[12:13]
.LBB8_1822:
	s_or_b64 exec, exec, s[8:9]
	global_store_byte v[4:5], v6, off
.LBB8_1823:
	s_mov_b64 s[8:9], -1
.LBB8_1824:
	s_mov_b64 s[10:11], 0
.LBB8_1825:
	s_and_b64 vcc, exec, s[10:11]
	s_cbranch_vccz .LBB8_1865
; %bb.1826:
	v_mov_b32_e32 v2, 22
	v_cmp_gt_i16_sdwa s[10:11], s38, v2 src0_sel:BYTE_0 src1_sel:DWORD
	s_mov_b64 s[6:7], -1
	s_and_b64 vcc, exec, s[10:11]
	s_cbranch_vccz .LBB8_1858
; %bb.1827:
	v_mov_b32_e32 v2, 24
	v_cmp_lt_i16_sdwa s[8:9], s38, v2 src0_sel:BYTE_0 src1_sel:DWORD
	s_and_b64 vcc, exec, s[8:9]
	s_cbranch_vccnz .LBB8_1847
; %bb.1828:
	v_cmp_gt_i16_sdwa s[8:9], s38, v2 src0_sel:BYTE_0 src1_sel:DWORD
	s_and_b64 vcc, exec, s[8:9]
	s_cbranch_vccz .LBB8_1836
; %bb.1829:
	v_cvt_f32_f64_e32 v2, v[0:1]
	v_and_b32_e32 v3, 0x7fffffff, v2
	s_mov_b32 s6, 0x47800000
	v_cmp_gt_u32_e32 vcc, s6, v3
	v_mov_b32_e32 v6, 0x80
	s_and_saveexec_b64 s[6:7], vcc
	s_cbranch_execz .LBB8_1835
; %bb.1830:
	s_mov_b32 s8, 0x37ffffff
	v_cmp_lt_u32_e32 vcc, s8, v3
	s_mov_b64 s[8:9], 0
                                        ; implicit-def: $vgpr3
	s_and_saveexec_b64 s[10:11], vcc
	s_xor_b64 s[10:11], exec, s[10:11]
	s_cbranch_execz .LBB8_1922
; %bb.1831:
	v_bfe_u32 v3, v2, 21, 1
	s_mov_b32 s12, 0x88fffff
	v_add3_u32 v3, v2, v3, s12
	s_mov_b64 s[8:9], exec
	v_lshrrev_b32_e32 v3, 21, v3
	s_or_saveexec_b64 s[10:11], s[10:11]
                                        ; implicit-def: $sgpr12
	s_xor_b64 exec, exec, s[10:11]
	s_cbranch_execnz .LBB8_1923
.LBB8_1832:
	s_or_b64 exec, exec, s[10:11]
	v_mov_b32_e32 v6, s12
	s_and_saveexec_b64 s[10:11], s[8:9]
.LBB8_1833:
	v_lshrrev_b32_e32 v2, 24, v2
	s_movk_i32 s8, 0x80
	v_and_or_b32 v6, v2, s8, v3
.LBB8_1834:
	s_or_b64 exec, exec, s[10:11]
.LBB8_1835:
	s_or_b64 exec, exec, s[6:7]
	s_mov_b64 s[6:7], 0
	global_store_byte v[4:5], v6, off
.LBB8_1836:
	s_and_b64 vcc, exec, s[6:7]
	s_cbranch_vccz .LBB8_1846
; %bb.1837:
	v_cvt_f32_f64_e32 v2, v[0:1]
	v_and_b32_e32 v6, 0x7fffffff, v2
	s_mov_b32 s6, 0x43f00000
	v_cmp_gt_u32_e32 vcc, s6, v6
                                        ; implicit-def: $vgpr3
	s_and_saveexec_b64 s[6:7], vcc
	s_xor_b64 s[6:7], exec, s[6:7]
	s_cbranch_execz .LBB8_1843
; %bb.1838:
	s_mov_b32 s8, 0x3c7fffff
	v_cmp_lt_u32_e32 vcc, s8, v6
                                        ; implicit-def: $vgpr3
	s_and_saveexec_b64 s[8:9], vcc
	s_xor_b64 s[8:9], exec, s[8:9]
; %bb.1839:
	v_bfe_u32 v3, v2, 20, 1
	s_mov_b32 s10, 0x407ffff
	v_add3_u32 v3, v2, v3, s10
	v_lshrrev_b32_e32 v6, 20, v3
	v_and_b32_e32 v3, 0xff00000, v3
	s_mov_b32 s10, 0x7f00000
	v_mov_b32_e32 v7, 0x7e
	v_cmp_ne_u32_e32 vcc, s10, v3
	v_cndmask_b32_e32 v3, v7, v6, vcc
; %bb.1840:
	s_andn2_saveexec_b64 s[8:9], s[8:9]
; %bb.1841:
	s_mov_b32 s10, 0x46800000
	v_add_f32_e64 v3, |v2|, s10
; %bb.1842:
	s_or_b64 exec, exec, s[8:9]
                                        ; implicit-def: $vgpr6
.LBB8_1843:
	s_andn2_saveexec_b64 s[6:7], s[6:7]
; %bb.1844:
	s_mov_b32 s8, 0x7f800000
	v_mov_b32_e32 v3, 0x7e
	v_mov_b32_e32 v7, 0x7f
	v_cmp_lt_u32_e32 vcc, s8, v6
	v_cndmask_b32_e32 v3, v3, v7, vcc
; %bb.1845:
	s_or_b64 exec, exec, s[6:7]
	v_lshrrev_b32_e32 v2, 24, v2
	s_movk_i32 s6, 0x80
	v_and_or_b32 v2, v2, s6, v3
	global_store_byte v[4:5], v2, off
.LBB8_1846:
	s_mov_b64 s[6:7], 0
.LBB8_1847:
	s_andn2_b64 vcc, exec, s[6:7]
	s_cbranch_vccnz .LBB8_1857
; %bb.1848:
	v_cvt_f32_f64_e32 v2, v[0:1]
	v_and_b32_e32 v6, 0x7fffffff, v2
	s_mov_b32 s6, 0x47800000
	v_cmp_gt_u32_e32 vcc, s6, v6
                                        ; implicit-def: $vgpr3
	s_and_saveexec_b64 s[6:7], vcc
	s_xor_b64 s[6:7], exec, s[6:7]
	s_cbranch_execz .LBB8_1854
; %bb.1849:
	s_mov_b32 s8, 0x387fffff
	v_cmp_lt_u32_e32 vcc, s8, v6
                                        ; implicit-def: $vgpr3
	s_and_saveexec_b64 s[8:9], vcc
	s_xor_b64 s[8:9], exec, s[8:9]
; %bb.1850:
	v_bfe_u32 v3, v2, 21, 1
	s_mov_b32 s10, 0x80fffff
	v_add3_u32 v3, v2, v3, s10
	v_lshrrev_b32_e32 v3, 21, v3
; %bb.1851:
	s_andn2_saveexec_b64 s[8:9], s[8:9]
; %bb.1852:
	s_mov_b32 s10, 0x43000000
	v_add_f32_e64 v3, |v2|, s10
; %bb.1853:
	s_or_b64 exec, exec, s[8:9]
                                        ; implicit-def: $vgpr6
.LBB8_1854:
	s_andn2_saveexec_b64 s[6:7], s[6:7]
; %bb.1855:
	s_mov_b32 s8, 0x7f800000
	v_mov_b32_e32 v3, 0x7c
	v_mov_b32_e32 v7, 0x7f
	v_cmp_lt_u32_e32 vcc, s8, v6
	v_cndmask_b32_e32 v3, v3, v7, vcc
; %bb.1856:
	s_or_b64 exec, exec, s[6:7]
	v_lshrrev_b32_e32 v2, 24, v2
	s_movk_i32 s6, 0x80
	v_and_or_b32 v2, v2, s6, v3
	global_store_byte v[4:5], v2, off
.LBB8_1857:
	s_mov_b64 s[6:7], 0
	s_mov_b64 s[8:9], -1
.LBB8_1858:
	s_andn2_b64 vcc, exec, s[6:7]
	s_mov_b64 s[6:7], 0
	s_cbranch_vccnz .LBB8_1865
; %bb.1859:
	v_mov_b32_e32 v2, 14
	v_cmp_gt_i16_sdwa s[6:7], s38, v2 src0_sel:BYTE_0 src1_sel:DWORD
	s_mov_b64 s[10:11], -1
	s_and_b64 vcc, exec, s[6:7]
	s_cbranch_vccz .LBB8_1863
; %bb.1860:
	v_mov_b32_e32 v2, 15
	v_cmp_eq_u16_sdwa s[6:7], s38, v2 src0_sel:BYTE_0 src1_sel:DWORD
	s_mov_b64 s[4:5], -1
	s_and_b64 vcc, exec, s[6:7]
	s_cbranch_vccz .LBB8_1862
; %bb.1861:
	v_cvt_f32_f64_e32 v2, v[0:1]
	v_bfe_u32 v3, v2, 16, 1
	s_movk_i32 s4, 0x7fff
	v_add3_u32 v3, v2, v3, s4
	v_lshrrev_b32_e32 v3, 16, v3
	v_mov_b32_e32 v6, 0x7fc0
	v_cmp_o_f32_e32 vcc, v2, v2
	v_cndmask_b32_e32 v2, v6, v3, vcc
	global_store_short v[4:5], v2, off
	s_mov_b64 s[4:5], 0
	s_mov_b64 s[8:9], -1
.LBB8_1862:
	s_mov_b64 s[10:11], 0
.LBB8_1863:
	s_mov_b64 s[6:7], 0
	s_and_b64 vcc, exec, s[10:11]
	s_cbranch_vccz .LBB8_1865
; %bb.1864:
	v_mov_b32_e32 v2, 11
	v_cmp_ne_u16_sdwa s[4:5], s38, v2 src0_sel:BYTE_0 src1_sel:DWORD
	s_mov_b64 s[6:7], -1
.LBB8_1865:
	s_and_b64 vcc, exec, s[4:5]
	s_cbranch_vccnz .LBB8_1921
; %bb.1866:
	s_andn2_b64 vcc, exec, s[6:7]
	s_cbranch_vccnz .LBB8_1868
.LBB8_1867:
	v_cmp_neq_f64_e32 vcc, 0, v[0:1]
	v_cndmask_b32_e64 v2, 0, 1, vcc
	s_mov_b64 s[8:9], -1
	global_store_byte v[4:5], v2, off
.LBB8_1868:
	s_mov_b64 s[4:5], 0
.LBB8_1869:
	s_and_b64 vcc, exec, s[4:5]
	s_cbranch_vccz .LBB8_1908
; %bb.1870:
	v_mov_b32_e32 v2, 5
	v_cmp_lt_i16_sdwa s[6:7], s38, v2 src0_sel:BYTE_0 src1_sel:DWORD
	s_mov_b64 s[4:5], -1
	s_and_b64 vcc, exec, s[6:7]
	s_cbranch_vccnz .LBB8_1891
; %bb.1871:
	v_mov_b32_e32 v2, 8
	v_cmp_lt_i16_sdwa s[6:7], s38, v2 src0_sel:BYTE_0 src1_sel:DWORD
	s_and_b64 vcc, exec, s[6:7]
	s_cbranch_vccnz .LBB8_1881
; %bb.1872:
	v_mov_b32_e32 v2, 9
	v_cmp_lt_i16_sdwa s[6:7], s38, v2 src0_sel:BYTE_0 src1_sel:DWORD
	s_and_b64 vcc, exec, s[6:7]
	s_cbranch_vccnz .LBB8_1878
; %bb.1873:
	v_cmp_gt_i16_sdwa s[6:7], s38, v2 src0_sel:BYTE_0 src1_sel:DWORD
	s_and_b64 vcc, exec, s[6:7]
	s_cbranch_vccz .LBB8_1875
; %bb.1874:
	v_mov_b32_e32 v2, 0
	v_mov_b32_e32 v3, v2
	global_store_dwordx4 v[4:5], v[0:3], off
	s_mov_b64 s[4:5], 0
.LBB8_1875:
	s_andn2_b64 vcc, exec, s[4:5]
	s_cbranch_vccnz .LBB8_1877
; %bb.1876:
	v_cvt_f32_f64_e32 v2, v[0:1]
	v_mov_b32_e32 v3, 0
	global_store_dwordx2 v[4:5], v[2:3], off
.LBB8_1877:
	s_mov_b64 s[4:5], 0
.LBB8_1878:
	s_andn2_b64 vcc, exec, s[4:5]
	s_cbranch_vccnz .LBB8_1880
; %bb.1879:
	v_cvt_f32_f64_e32 v2, v[0:1]
	v_cvt_f16_f32_e32 v2, v2
	global_store_dword v[4:5], v2, off
.LBB8_1880:
	s_mov_b64 s[4:5], 0
.LBB8_1881:
	s_andn2_b64 vcc, exec, s[4:5]
	s_cbranch_vccnz .LBB8_1890
; %bb.1882:
	v_mov_b32_e32 v2, 6
	v_cmp_lt_i16_sdwa s[6:7], s38, v2 src0_sel:BYTE_0 src1_sel:DWORD
	s_mov_b64 s[4:5], -1
	s_and_b64 vcc, exec, s[6:7]
	s_cbranch_vccnz .LBB8_1888
; %bb.1883:
	v_cmp_gt_i16_sdwa s[6:7], s38, v2 src0_sel:BYTE_0 src1_sel:DWORD
	s_and_b64 vcc, exec, s[6:7]
	s_cbranch_vccz .LBB8_1885
; %bb.1884:
	global_store_dwordx2 v[4:5], v[0:1], off
	s_mov_b64 s[4:5], 0
.LBB8_1885:
	s_andn2_b64 vcc, exec, s[4:5]
	s_cbranch_vccnz .LBB8_1887
; %bb.1886:
	v_cvt_f32_f64_e32 v2, v[0:1]
	global_store_dword v[4:5], v2, off
.LBB8_1887:
	s_mov_b64 s[4:5], 0
.LBB8_1888:
	s_andn2_b64 vcc, exec, s[4:5]
	s_cbranch_vccnz .LBB8_1890
; %bb.1889:
	v_cvt_f32_f64_e32 v2, v[0:1]
	v_cvt_f16_f32_e32 v2, v2
	global_store_short v[4:5], v2, off
.LBB8_1890:
	s_mov_b64 s[4:5], 0
.LBB8_1891:
	s_andn2_b64 vcc, exec, s[4:5]
	s_cbranch_vccnz .LBB8_1907
; %bb.1892:
	v_mov_b32_e32 v2, 2
	v_cmp_lt_i16_sdwa s[6:7], s38, v2 src0_sel:BYTE_0 src1_sel:DWORD
	s_mov_b64 s[4:5], -1
	s_and_b64 vcc, exec, s[6:7]
	s_cbranch_vccnz .LBB8_1902
; %bb.1893:
	v_mov_b32_e32 v2, 3
	v_cmp_lt_i16_sdwa s[6:7], s38, v2 src0_sel:BYTE_0 src1_sel:DWORD
	s_and_b64 vcc, exec, s[6:7]
	s_cbranch_vccnz .LBB8_1899
; %bb.1894:
	v_cmp_gt_i16_sdwa s[6:7], s38, v2 src0_sel:BYTE_0 src1_sel:DWORD
	s_and_b64 vcc, exec, s[6:7]
	s_cbranch_vccz .LBB8_1896
; %bb.1895:
	v_trunc_f64_e32 v[2:3], v[0:1]
	s_movk_i32 s4, 0xffe0
	v_ldexp_f64 v[6:7], v[2:3], s4
	v_floor_f64_e32 v[6:7], v[6:7]
	v_fmac_f64_e32 v[2:3], 0xc1f00000, v[6:7]
	v_cvt_i32_f64_e32 v9, v[6:7]
	v_cvt_u32_f64_e32 v8, v[2:3]
	global_store_dwordx2 v[4:5], v[8:9], off
	s_mov_b64 s[4:5], 0
.LBB8_1896:
	s_andn2_b64 vcc, exec, s[4:5]
	s_cbranch_vccnz .LBB8_1898
; %bb.1897:
	v_cvt_i32_f64_e32 v2, v[0:1]
	global_store_dword v[4:5], v2, off
.LBB8_1898:
	s_mov_b64 s[4:5], 0
.LBB8_1899:
	s_andn2_b64 vcc, exec, s[4:5]
	s_cbranch_vccnz .LBB8_1901
; %bb.1900:
	v_cvt_i32_f64_e32 v2, v[0:1]
	global_store_short v[4:5], v2, off
.LBB8_1901:
	s_mov_b64 s[4:5], 0
.LBB8_1902:
	s_andn2_b64 vcc, exec, s[4:5]
	s_cbranch_vccnz .LBB8_1907
; %bb.1903:
	v_mov_b32_e32 v2, 0
	v_cmp_gt_i16_sdwa s[6:7], s38, v2 src0_sel:BYTE_0 src1_sel:DWORD
	s_mov_b64 s[4:5], -1
	s_and_b64 vcc, exec, s[6:7]
	s_cbranch_vccz .LBB8_1905
; %bb.1904:
	v_cvt_i32_f64_e32 v2, v[0:1]
	global_store_byte v[4:5], v2, off
	s_mov_b64 s[4:5], 0
.LBB8_1905:
	s_andn2_b64 vcc, exec, s[4:5]
	s_cbranch_vccnz .LBB8_1907
; %bb.1906:
	v_trunc_f64_e32 v[0:1], v[0:1]
	s_movk_i32 s4, 0xffe0
	v_ldexp_f64 v[2:3], v[0:1], s4
	v_floor_f64_e32 v[2:3], v[2:3]
	v_fmac_f64_e32 v[0:1], 0xc1f00000, v[2:3]
	v_cvt_u32_f64_e32 v0, v[0:1]
	global_store_byte v[4:5], v0, off
.LBB8_1907:
	s_mov_b64 s[8:9], -1
.LBB8_1908:
	s_andn2_b64 vcc, exec, s[8:9]
	s_cbranch_vccnz .LBB8_2112
; %bb.1909:
	v_mov_b32_e32 v0, v44
	v_mov_b32_e32 v1, v45
	s_getpc_b64 s[4:5]
	s_add_u32 s4, s4, _Z17bessel_j1_forwardIdET_S0_@rel32@lo+4
	s_addc_u32 s5, s5, _Z17bessel_j1_forwardIdET_S0_@rel32@hi+12
	s_swappc_b64 s[30:31], s[4:5]
	v_mov_b32_e32 v2, s41
	v_add_co_u32_e32 v4, vcc, s40, v58
	v_addc_co_u32_e32 v5, vcc, 0, v2, vcc
	v_mov_b32_e32 v2, 11
	v_cmp_lt_i16_sdwa s[4:5], s38, v2 src0_sel:BYTE_0 src1_sel:DWORD
	s_and_b64 vcc, exec, s[4:5]
	s_cbranch_vccnz .LBB8_1916
; %bb.1910:
	v_mov_b32_e32 v2, 25
	v_cmp_gt_i16_sdwa s[4:5], s38, v2 src0_sel:BYTE_0 src1_sel:DWORD
	s_mov_b64 s[10:11], -1
	s_mov_b64 s[6:7], 0
	s_and_b64 vcc, exec, s[4:5]
	s_mov_b64 s[8:9], 0
	s_mov_b64 s[4:5], 0
	s_cbranch_vccz .LBB8_1952
; %bb.1911:
	v_mov_b32_e32 v2, 28
	v_cmp_gt_i16_sdwa s[4:5], s38, v2 src0_sel:BYTE_0 src1_sel:DWORD
	s_and_b64 vcc, exec, s[4:5]
	s_cbranch_vccz .LBB8_1917
; %bb.1912:
	v_mov_b32_e32 v2, 43
	v_cmp_gt_i16_sdwa s[4:5], s38, v2 src0_sel:BYTE_0 src1_sel:DWORD
	s_and_b64 vcc, exec, s[4:5]
	s_cbranch_vccz .LBB8_1920
; %bb.1913:
	v_mov_b32_e32 v2, 45
	v_cmp_gt_i16_sdwa s[4:5], s38, v2 src0_sel:BYTE_0 src1_sel:DWORD
	s_and_b64 vcc, exec, s[4:5]
	s_cbranch_vccz .LBB8_1924
; %bb.1914:
	v_mov_b32_e32 v2, 46
	v_cmp_eq_u16_sdwa s[8:9], s38, v2 src0_sel:BYTE_0 src1_sel:DWORD
	s_mov_b64 s[4:5], -1
	s_mov_b64 s[10:11], 0
	s_and_b64 vcc, exec, s[8:9]
	s_mov_b64 s[8:9], 0
	s_cbranch_vccz .LBB8_1925
; %bb.1915:
	v_cvt_f32_f64_e32 v2, v[0:1]
	v_bfe_u32 v3, v2, 16, 1
	s_movk_i32 s4, 0x7fff
	v_add3_u32 v3, v2, v3, s4
	v_lshrrev_b32_e32 v3, 16, v3
	v_mov_b32_e32 v6, 0x7fc0
	v_cmp_o_f32_e32 vcc, v2, v2
	v_cndmask_b32_e32 v2, v6, v3, vcc
	global_store_dword v[4:5], v2, off
	s_mov_b64 s[4:5], 0
	s_mov_b64 s[8:9], -1
	s_branch .LBB8_1925
.LBB8_1916:
	s_mov_b64 s[4:5], -1
	s_mov_b64 s[8:9], 0
	s_branch .LBB8_1996
.LBB8_1917:
	s_mov_b64 s[4:5], 0
	s_branch .LBB8_1935
.LBB8_1918:
	s_or_saveexec_b64 s[12:13], s[12:13]
                                        ; implicit-def: $sgpr14
	s_xor_b64 exec, exec, s[12:13]
	s_cbranch_execz .LBB8_1819
.LBB8_1919:
	s_mov_b32 s14, 0x46000000
	v_add_f32_e64 v3, |v2|, s14
	v_and_b32_e32 v3, 0xff, v3
	v_cmp_ne_u32_e32 vcc, 0, v3
	s_andn2_b64 s[10:11], s[10:11], exec
	s_and_b64 s[16:17], vcc, exec
	s_mov_b32 s14, 0
	s_or_b64 s[10:11], s[10:11], s[16:17]
	s_or_b64 exec, exec, s[12:13]
	v_mov_b32_e32 v6, s14
	s_and_saveexec_b64 s[12:13], s[10:11]
	s_cbranch_execnz .LBB8_1820
	s_branch .LBB8_1821
.LBB8_1920:
	s_mov_b64 s[4:5], 0
	s_branch .LBB8_1931
.LBB8_1921:
	s_trap 2
	s_or_b64 s[36:37], s[36:37], exec
	s_cbranch_execz .LBB8_1867
	s_branch .LBB8_1868
.LBB8_1922:
	s_or_saveexec_b64 s[10:11], s[10:11]
                                        ; implicit-def: $sgpr12
	s_xor_b64 exec, exec, s[10:11]
	s_cbranch_execz .LBB8_1832
.LBB8_1923:
	s_mov_b32 s12, 0x42800000
	v_add_f32_e64 v3, |v2|, s12
	v_and_b32_e32 v3, 0xff, v3
	v_cmp_ne_u32_e32 vcc, 0, v3
	s_andn2_b64 s[8:9], s[8:9], exec
	s_and_b64 s[14:15], vcc, exec
	s_mov_b32 s12, 0
	s_or_b64 s[8:9], s[8:9], s[14:15]
	s_or_b64 exec, exec, s[10:11]
	v_mov_b32_e32 v6, s12
	s_and_saveexec_b64 s[10:11], s[8:9]
	s_cbranch_execnz .LBB8_1833
	s_branch .LBB8_1834
.LBB8_1924:
	s_mov_b64 s[4:5], 0
.LBB8_1925:
	s_and_b64 vcc, exec, s[10:11]
	s_cbranch_vccz .LBB8_1930
; %bb.1926:
	v_mov_b32_e32 v2, 44
	v_cmp_eq_u16_sdwa s[10:11], s38, v2 src0_sel:BYTE_0 src1_sel:DWORD
	s_mov_b64 s[4:5], -1
	s_and_b64 vcc, exec, s[10:11]
	s_cbranch_vccz .LBB8_1930
; %bb.1927:
	v_cvt_f32_f64_e32 v2, v[0:1]
	v_bfe_u32 v3, v2, 23, 8
	s_movk_i32 s4, 0xff
	v_cmp_ne_u32_e32 vcc, s4, v3
	v_mov_b32_e32 v6, 0xff
	s_and_saveexec_b64 s[8:9], vcc
; %bb.1928:
	s_mov_b32 s4, 0x3fffff
	v_lshrrev_b32_e32 v6, 23, v2
	v_and_b32_e32 v7, 0x400000, v2
	v_and_or_b32 v2, v2, s4, v3
	v_cmp_ne_u32_e32 vcc, 0, v7
	v_cmp_ne_u32_e64 s[4:5], 0, v2
	s_and_b64 s[4:5], vcc, s[4:5]
	v_cndmask_b32_e64 v2, 0, 1, s[4:5]
	v_add_u32_e32 v6, v6, v2
; %bb.1929:
	s_or_b64 exec, exec, s[8:9]
	s_mov_b64 s[4:5], 0
	s_mov_b64 s[8:9], -1
	global_store_byte v[4:5], v6, off
.LBB8_1930:
	s_mov_b64 s[10:11], 0
.LBB8_1931:
	s_and_b64 vcc, exec, s[10:11]
	s_cbranch_vccz .LBB8_1934
; %bb.1932:
	v_mov_b32_e32 v2, 29
	v_cmp_eq_u16_sdwa s[10:11], s38, v2 src0_sel:BYTE_0 src1_sel:DWORD
	s_mov_b64 s[4:5], -1
	s_and_b64 vcc, exec, s[10:11]
	s_cbranch_vccz .LBB8_1934
; %bb.1933:
	v_trunc_f64_e32 v[2:3], v[0:1]
	s_movk_i32 s4, 0xffe0
	v_ldexp_f64 v[6:7], v[2:3], s4
	v_floor_f64_e32 v[6:7], v[6:7]
	v_fmac_f64_e32 v[2:3], 0xc1f00000, v[6:7]
	v_cvt_u32_f64_e32 v9, v[6:7]
	v_cvt_u32_f64_e32 v8, v[2:3]
	global_store_dwordx2 v[4:5], v[8:9], off
	s_mov_b64 s[4:5], 0
	s_mov_b64 s[8:9], -1
.LBB8_1934:
	s_mov_b64 s[10:11], 0
.LBB8_1935:
	s_and_b64 vcc, exec, s[10:11]
	s_cbranch_vccz .LBB8_1951
; %bb.1936:
	v_mov_b32_e32 v2, 27
	v_cmp_lt_i16_sdwa s[10:11], s38, v2 src0_sel:BYTE_0 src1_sel:DWORD
	s_mov_b64 s[8:9], -1
	s_and_b64 vcc, exec, s[10:11]
	s_cbranch_vccnz .LBB8_1942
; %bb.1937:
	v_cmp_gt_i16_sdwa s[10:11], s38, v2 src0_sel:BYTE_0 src1_sel:DWORD
	s_and_b64 vcc, exec, s[10:11]
	v_cvt_u32_f64_e32 v2, v[0:1]
	s_cbranch_vccz .LBB8_1939
; %bb.1938:
	s_mov_b64 s[8:9], 0
	global_store_dword v[4:5], v2, off
.LBB8_1939:
	s_andn2_b64 vcc, exec, s[8:9]
	s_cbranch_vccnz .LBB8_1941
; %bb.1940:
	global_store_short v[4:5], v2, off
.LBB8_1941:
	s_mov_b64 s[8:9], 0
.LBB8_1942:
	s_andn2_b64 vcc, exec, s[8:9]
	s_cbranch_vccnz .LBB8_1950
; %bb.1943:
	v_cvt_f32_f64_e32 v2, v[0:1]
	v_and_b32_e32 v3, 0x7fffffff, v2
	s_mov_b32 s8, 0x43800000
	v_cmp_gt_u32_e32 vcc, s8, v3
	v_mov_b32_e32 v6, 0x80
	s_and_saveexec_b64 s[8:9], vcc
	s_cbranch_execz .LBB8_1949
; %bb.1944:
	s_mov_b32 s10, 0x3bffffff
	v_cmp_lt_u32_e32 vcc, s10, v3
	s_mov_b64 s[10:11], 0
                                        ; implicit-def: $vgpr3
	s_and_saveexec_b64 s[12:13], vcc
	s_xor_b64 s[12:13], exec, s[12:13]
	s_cbranch_execz .LBB8_2158
; %bb.1945:
	v_bfe_u32 v3, v2, 20, 1
	s_mov_b32 s14, 0x487ffff
	v_add3_u32 v3, v2, v3, s14
	s_mov_b64 s[10:11], exec
	v_lshrrev_b32_e32 v3, 20, v3
	s_or_saveexec_b64 s[12:13], s[12:13]
                                        ; implicit-def: $sgpr14
	s_xor_b64 exec, exec, s[12:13]
	s_cbranch_execnz .LBB8_2159
.LBB8_1946:
	s_or_b64 exec, exec, s[12:13]
	v_mov_b32_e32 v6, s14
	s_and_saveexec_b64 s[12:13], s[10:11]
.LBB8_1947:
	v_lshrrev_b32_e32 v2, 24, v2
	s_movk_i32 s10, 0x80
	v_and_or_b32 v6, v2, s10, v3
.LBB8_1948:
	s_or_b64 exec, exec, s[12:13]
.LBB8_1949:
	s_or_b64 exec, exec, s[8:9]
	global_store_byte v[4:5], v6, off
.LBB8_1950:
	s_mov_b64 s[8:9], -1
.LBB8_1951:
	s_mov_b64 s[10:11], 0
.LBB8_1952:
	s_and_b64 vcc, exec, s[10:11]
	s_cbranch_vccz .LBB8_1992
; %bb.1953:
	v_mov_b32_e32 v2, 22
	v_cmp_gt_i16_sdwa s[10:11], s38, v2 src0_sel:BYTE_0 src1_sel:DWORD
	s_mov_b64 s[6:7], -1
	s_and_b64 vcc, exec, s[10:11]
	s_cbranch_vccz .LBB8_1985
; %bb.1954:
	v_mov_b32_e32 v2, 24
	v_cmp_lt_i16_sdwa s[8:9], s38, v2 src0_sel:BYTE_0 src1_sel:DWORD
	s_and_b64 vcc, exec, s[8:9]
	s_cbranch_vccnz .LBB8_1974
; %bb.1955:
	v_cmp_gt_i16_sdwa s[8:9], s38, v2 src0_sel:BYTE_0 src1_sel:DWORD
	s_and_b64 vcc, exec, s[8:9]
	s_cbranch_vccz .LBB8_1963
; %bb.1956:
	v_cvt_f32_f64_e32 v2, v[0:1]
	v_and_b32_e32 v3, 0x7fffffff, v2
	s_mov_b32 s6, 0x47800000
	v_cmp_gt_u32_e32 vcc, s6, v3
	v_mov_b32_e32 v6, 0x80
	s_and_saveexec_b64 s[6:7], vcc
	s_cbranch_execz .LBB8_1962
; %bb.1957:
	s_mov_b32 s8, 0x37ffffff
	v_cmp_lt_u32_e32 vcc, s8, v3
	s_mov_b64 s[8:9], 0
                                        ; implicit-def: $vgpr3
	s_and_saveexec_b64 s[10:11], vcc
	s_xor_b64 s[10:11], exec, s[10:11]
	s_cbranch_execz .LBB8_2161
; %bb.1958:
	v_bfe_u32 v3, v2, 21, 1
	s_mov_b32 s12, 0x88fffff
	v_add3_u32 v3, v2, v3, s12
	s_mov_b64 s[8:9], exec
	v_lshrrev_b32_e32 v3, 21, v3
	s_or_saveexec_b64 s[10:11], s[10:11]
                                        ; implicit-def: $sgpr12
	s_xor_b64 exec, exec, s[10:11]
	s_cbranch_execnz .LBB8_2162
.LBB8_1959:
	s_or_b64 exec, exec, s[10:11]
	v_mov_b32_e32 v6, s12
	s_and_saveexec_b64 s[10:11], s[8:9]
.LBB8_1960:
	v_lshrrev_b32_e32 v2, 24, v2
	s_movk_i32 s8, 0x80
	v_and_or_b32 v6, v2, s8, v3
.LBB8_1961:
	s_or_b64 exec, exec, s[10:11]
.LBB8_1962:
	s_or_b64 exec, exec, s[6:7]
	s_mov_b64 s[6:7], 0
	global_store_byte v[4:5], v6, off
.LBB8_1963:
	s_and_b64 vcc, exec, s[6:7]
	s_cbranch_vccz .LBB8_1973
; %bb.1964:
	v_cvt_f32_f64_e32 v2, v[0:1]
	v_and_b32_e32 v6, 0x7fffffff, v2
	s_mov_b32 s6, 0x43f00000
	v_cmp_gt_u32_e32 vcc, s6, v6
                                        ; implicit-def: $vgpr3
	s_and_saveexec_b64 s[6:7], vcc
	s_xor_b64 s[6:7], exec, s[6:7]
	s_cbranch_execz .LBB8_1970
; %bb.1965:
	s_mov_b32 s8, 0x3c7fffff
	v_cmp_lt_u32_e32 vcc, s8, v6
                                        ; implicit-def: $vgpr3
	s_and_saveexec_b64 s[8:9], vcc
	s_xor_b64 s[8:9], exec, s[8:9]
; %bb.1966:
	v_bfe_u32 v3, v2, 20, 1
	s_mov_b32 s10, 0x407ffff
	v_add3_u32 v3, v2, v3, s10
	v_lshrrev_b32_e32 v6, 20, v3
	v_and_b32_e32 v3, 0xff00000, v3
	s_mov_b32 s10, 0x7f00000
	v_mov_b32_e32 v7, 0x7e
	v_cmp_ne_u32_e32 vcc, s10, v3
	v_cndmask_b32_e32 v3, v7, v6, vcc
; %bb.1967:
	s_andn2_saveexec_b64 s[8:9], s[8:9]
; %bb.1968:
	s_mov_b32 s10, 0x46800000
	v_add_f32_e64 v3, |v2|, s10
; %bb.1969:
	s_or_b64 exec, exec, s[8:9]
                                        ; implicit-def: $vgpr6
.LBB8_1970:
	s_andn2_saveexec_b64 s[6:7], s[6:7]
; %bb.1971:
	s_mov_b32 s8, 0x7f800000
	v_mov_b32_e32 v3, 0x7e
	v_mov_b32_e32 v7, 0x7f
	v_cmp_lt_u32_e32 vcc, s8, v6
	v_cndmask_b32_e32 v3, v3, v7, vcc
; %bb.1972:
	s_or_b64 exec, exec, s[6:7]
	v_lshrrev_b32_e32 v2, 24, v2
	s_movk_i32 s6, 0x80
	v_and_or_b32 v2, v2, s6, v3
	global_store_byte v[4:5], v2, off
.LBB8_1973:
	s_mov_b64 s[6:7], 0
.LBB8_1974:
	s_andn2_b64 vcc, exec, s[6:7]
	s_cbranch_vccnz .LBB8_1984
; %bb.1975:
	v_cvt_f32_f64_e32 v2, v[0:1]
	v_and_b32_e32 v6, 0x7fffffff, v2
	s_mov_b32 s6, 0x47800000
	v_cmp_gt_u32_e32 vcc, s6, v6
                                        ; implicit-def: $vgpr3
	s_and_saveexec_b64 s[6:7], vcc
	s_xor_b64 s[6:7], exec, s[6:7]
	s_cbranch_execz .LBB8_1981
; %bb.1976:
	s_mov_b32 s8, 0x387fffff
	v_cmp_lt_u32_e32 vcc, s8, v6
                                        ; implicit-def: $vgpr3
	s_and_saveexec_b64 s[8:9], vcc
	s_xor_b64 s[8:9], exec, s[8:9]
; %bb.1977:
	v_bfe_u32 v3, v2, 21, 1
	s_mov_b32 s10, 0x80fffff
	v_add3_u32 v3, v2, v3, s10
	v_lshrrev_b32_e32 v3, 21, v3
; %bb.1978:
	s_andn2_saveexec_b64 s[8:9], s[8:9]
; %bb.1979:
	s_mov_b32 s10, 0x43000000
	v_add_f32_e64 v3, |v2|, s10
; %bb.1980:
	s_or_b64 exec, exec, s[8:9]
                                        ; implicit-def: $vgpr6
.LBB8_1981:
	s_andn2_saveexec_b64 s[6:7], s[6:7]
; %bb.1982:
	s_mov_b32 s8, 0x7f800000
	v_mov_b32_e32 v3, 0x7c
	v_mov_b32_e32 v7, 0x7f
	v_cmp_lt_u32_e32 vcc, s8, v6
	v_cndmask_b32_e32 v3, v3, v7, vcc
; %bb.1983:
	s_or_b64 exec, exec, s[6:7]
	v_lshrrev_b32_e32 v2, 24, v2
	s_movk_i32 s6, 0x80
	v_and_or_b32 v2, v2, s6, v3
	global_store_byte v[4:5], v2, off
.LBB8_1984:
	s_mov_b64 s[6:7], 0
	s_mov_b64 s[8:9], -1
.LBB8_1985:
	s_andn2_b64 vcc, exec, s[6:7]
	s_mov_b64 s[6:7], 0
	s_cbranch_vccnz .LBB8_1992
; %bb.1986:
	v_mov_b32_e32 v2, 14
	v_cmp_gt_i16_sdwa s[6:7], s38, v2 src0_sel:BYTE_0 src1_sel:DWORD
	s_mov_b64 s[10:11], -1
	s_and_b64 vcc, exec, s[6:7]
	s_cbranch_vccz .LBB8_1990
; %bb.1987:
	v_mov_b32_e32 v2, 15
	v_cmp_eq_u16_sdwa s[6:7], s38, v2 src0_sel:BYTE_0 src1_sel:DWORD
	s_mov_b64 s[4:5], -1
	s_and_b64 vcc, exec, s[6:7]
	s_cbranch_vccz .LBB8_1989
; %bb.1988:
	v_cvt_f32_f64_e32 v2, v[0:1]
	v_bfe_u32 v3, v2, 16, 1
	s_movk_i32 s4, 0x7fff
	v_add3_u32 v3, v2, v3, s4
	v_lshrrev_b32_e32 v3, 16, v3
	v_mov_b32_e32 v6, 0x7fc0
	v_cmp_o_f32_e32 vcc, v2, v2
	v_cndmask_b32_e32 v2, v6, v3, vcc
	global_store_short v[4:5], v2, off
	s_mov_b64 s[4:5], 0
	s_mov_b64 s[8:9], -1
.LBB8_1989:
	s_mov_b64 s[10:11], 0
.LBB8_1990:
	s_mov_b64 s[6:7], 0
	s_and_b64 vcc, exec, s[10:11]
	s_cbranch_vccz .LBB8_1992
; %bb.1991:
	v_mov_b32_e32 v2, 11
	v_cmp_ne_u16_sdwa s[4:5], s38, v2 src0_sel:BYTE_0 src1_sel:DWORD
	s_mov_b64 s[6:7], -1
.LBB8_1992:
	s_and_b64 vcc, exec, s[4:5]
	s_cbranch_vccnz .LBB8_2160
; %bb.1993:
	s_andn2_b64 vcc, exec, s[6:7]
	s_cbranch_vccnz .LBB8_1995
.LBB8_1994:
	v_cmp_neq_f64_e32 vcc, 0, v[0:1]
	v_cndmask_b32_e64 v2, 0, 1, vcc
	s_mov_b64 s[8:9], -1
	global_store_byte v[4:5], v2, off
.LBB8_1995:
	s_mov_b64 s[4:5], 0
.LBB8_1996:
	s_and_b64 vcc, exec, s[4:5]
	s_cbranch_vccz .LBB8_2035
; %bb.1997:
	v_mov_b32_e32 v2, 5
	v_cmp_lt_i16_sdwa s[6:7], s38, v2 src0_sel:BYTE_0 src1_sel:DWORD
	s_mov_b64 s[4:5], -1
	s_and_b64 vcc, exec, s[6:7]
	s_cbranch_vccnz .LBB8_2018
; %bb.1998:
	v_mov_b32_e32 v2, 8
	v_cmp_lt_i16_sdwa s[6:7], s38, v2 src0_sel:BYTE_0 src1_sel:DWORD
	s_and_b64 vcc, exec, s[6:7]
	s_cbranch_vccnz .LBB8_2008
; %bb.1999:
	v_mov_b32_e32 v2, 9
	v_cmp_lt_i16_sdwa s[6:7], s38, v2 src0_sel:BYTE_0 src1_sel:DWORD
	s_and_b64 vcc, exec, s[6:7]
	s_cbranch_vccnz .LBB8_2005
; %bb.2000:
	v_cmp_gt_i16_sdwa s[6:7], s38, v2 src0_sel:BYTE_0 src1_sel:DWORD
	s_and_b64 vcc, exec, s[6:7]
	s_cbranch_vccz .LBB8_2002
; %bb.2001:
	v_mov_b32_e32 v2, 0
	v_mov_b32_e32 v3, v2
	global_store_dwordx4 v[4:5], v[0:3], off
	s_mov_b64 s[4:5], 0
.LBB8_2002:
	s_andn2_b64 vcc, exec, s[4:5]
	s_cbranch_vccnz .LBB8_2004
; %bb.2003:
	v_cvt_f32_f64_e32 v2, v[0:1]
	v_mov_b32_e32 v3, 0
	global_store_dwordx2 v[4:5], v[2:3], off
.LBB8_2004:
	s_mov_b64 s[4:5], 0
.LBB8_2005:
	s_andn2_b64 vcc, exec, s[4:5]
	s_cbranch_vccnz .LBB8_2007
; %bb.2006:
	v_cvt_f32_f64_e32 v2, v[0:1]
	v_cvt_f16_f32_e32 v2, v2
	global_store_dword v[4:5], v2, off
.LBB8_2007:
	s_mov_b64 s[4:5], 0
.LBB8_2008:
	s_andn2_b64 vcc, exec, s[4:5]
	s_cbranch_vccnz .LBB8_2017
; %bb.2009:
	v_mov_b32_e32 v2, 6
	v_cmp_lt_i16_sdwa s[6:7], s38, v2 src0_sel:BYTE_0 src1_sel:DWORD
	s_mov_b64 s[4:5], -1
	s_and_b64 vcc, exec, s[6:7]
	s_cbranch_vccnz .LBB8_2015
; %bb.2010:
	v_cmp_gt_i16_sdwa s[6:7], s38, v2 src0_sel:BYTE_0 src1_sel:DWORD
	s_and_b64 vcc, exec, s[6:7]
	s_cbranch_vccz .LBB8_2012
; %bb.2011:
	global_store_dwordx2 v[4:5], v[0:1], off
	s_mov_b64 s[4:5], 0
.LBB8_2012:
	s_andn2_b64 vcc, exec, s[4:5]
	s_cbranch_vccnz .LBB8_2014
; %bb.2013:
	v_cvt_f32_f64_e32 v2, v[0:1]
	global_store_dword v[4:5], v2, off
.LBB8_2014:
	s_mov_b64 s[4:5], 0
.LBB8_2015:
	s_andn2_b64 vcc, exec, s[4:5]
	s_cbranch_vccnz .LBB8_2017
; %bb.2016:
	v_cvt_f32_f64_e32 v2, v[0:1]
	v_cvt_f16_f32_e32 v2, v2
	global_store_short v[4:5], v2, off
.LBB8_2017:
	s_mov_b64 s[4:5], 0
.LBB8_2018:
	s_andn2_b64 vcc, exec, s[4:5]
	s_cbranch_vccnz .LBB8_2034
; %bb.2019:
	v_mov_b32_e32 v2, 2
	v_cmp_lt_i16_sdwa s[6:7], s38, v2 src0_sel:BYTE_0 src1_sel:DWORD
	s_mov_b64 s[4:5], -1
	s_and_b64 vcc, exec, s[6:7]
	s_cbranch_vccnz .LBB8_2029
; %bb.2020:
	v_mov_b32_e32 v2, 3
	v_cmp_lt_i16_sdwa s[6:7], s38, v2 src0_sel:BYTE_0 src1_sel:DWORD
	s_and_b64 vcc, exec, s[6:7]
	s_cbranch_vccnz .LBB8_2026
; %bb.2021:
	v_cmp_gt_i16_sdwa s[6:7], s38, v2 src0_sel:BYTE_0 src1_sel:DWORD
	s_and_b64 vcc, exec, s[6:7]
	s_cbranch_vccz .LBB8_2023
; %bb.2022:
	v_trunc_f64_e32 v[2:3], v[0:1]
	s_movk_i32 s4, 0xffe0
	v_ldexp_f64 v[6:7], v[2:3], s4
	v_floor_f64_e32 v[6:7], v[6:7]
	v_fmac_f64_e32 v[2:3], 0xc1f00000, v[6:7]
	v_cvt_i32_f64_e32 v9, v[6:7]
	v_cvt_u32_f64_e32 v8, v[2:3]
	global_store_dwordx2 v[4:5], v[8:9], off
	s_mov_b64 s[4:5], 0
.LBB8_2023:
	s_andn2_b64 vcc, exec, s[4:5]
	s_cbranch_vccnz .LBB8_2025
; %bb.2024:
	v_cvt_i32_f64_e32 v2, v[0:1]
	global_store_dword v[4:5], v2, off
.LBB8_2025:
	s_mov_b64 s[4:5], 0
.LBB8_2026:
	s_andn2_b64 vcc, exec, s[4:5]
	s_cbranch_vccnz .LBB8_2028
; %bb.2027:
	v_cvt_i32_f64_e32 v2, v[0:1]
	global_store_short v[4:5], v2, off
.LBB8_2028:
	s_mov_b64 s[4:5], 0
.LBB8_2029:
	s_andn2_b64 vcc, exec, s[4:5]
	s_cbranch_vccnz .LBB8_2034
; %bb.2030:
	v_mov_b32_e32 v2, 0
	v_cmp_gt_i16_sdwa s[6:7], s38, v2 src0_sel:BYTE_0 src1_sel:DWORD
	s_mov_b64 s[4:5], -1
	s_and_b64 vcc, exec, s[6:7]
	s_cbranch_vccz .LBB8_2032
; %bb.2031:
	v_cvt_i32_f64_e32 v2, v[0:1]
	global_store_byte v[4:5], v2, off
	s_mov_b64 s[4:5], 0
.LBB8_2032:
	s_andn2_b64 vcc, exec, s[4:5]
	s_cbranch_vccnz .LBB8_2034
; %bb.2033:
	v_trunc_f64_e32 v[0:1], v[0:1]
	s_movk_i32 s4, 0xffe0
	v_ldexp_f64 v[2:3], v[0:1], s4
	v_floor_f64_e32 v[2:3], v[2:3]
	v_fmac_f64_e32 v[0:1], 0xc1f00000, v[2:3]
	v_cvt_u32_f64_e32 v0, v[0:1]
	global_store_byte v[4:5], v0, off
.LBB8_2034:
	s_mov_b64 s[8:9], -1
.LBB8_2035:
	s_andn2_b64 vcc, exec, s[8:9]
	s_cbranch_vccnz .LBB8_2112
; %bb.2036:
	v_mov_b32_e32 v0, v46
	v_mov_b32_e32 v1, v47
	s_getpc_b64 s[4:5]
	s_add_u32 s4, s4, _Z17bessel_j1_forwardIdET_S0_@rel32@lo+4
	s_addc_u32 s5, s5, _Z17bessel_j1_forwardIdET_S0_@rel32@hi+12
	s_swappc_b64 s[30:31], s[4:5]
	v_mov_b32_e32 v2, 0xff
	v_and_b32_e32 v6, s38, v2
	v_mov_b32_e32 v2, s41
	v_add_co_u32_e32 v4, vcc, s40, v56
	v_addc_co_u32_e32 v5, vcc, 0, v2, vcc
	v_cmp_gt_i16_e32 vcc, 11, v6
	s_cbranch_vccnz .LBB8_2157
; %bb.2037:
	v_cmp_lt_i16_e32 vcc, 25, v6
	s_mov_b64 s[8:9], -1
	s_mov_b64 s[6:7], 0
	s_mov_b64 s[4:5], 0
	s_cbranch_vccz .LBB8_2070
; %bb.2038:
	v_cmp_lt_i16_e32 vcc, 28, v6
	s_cbranch_vccz .LBB8_2054
; %bb.2039:
	v_cmp_lt_i16_e32 vcc, 43, v6
	;; [unrolled: 3-line block ×3, first 2 shown]
	s_cbranch_vccz .LBB8_2044
; %bb.2041:
	v_cmp_eq_u16_e32 vcc, 46, v6
	s_mov_b64 s[4:5], -1
	s_cbranch_vccz .LBB8_2043
; %bb.2042:
	v_cvt_f32_f64_e32 v2, v[0:1]
	v_bfe_u32 v3, v2, 16, 1
	s_movk_i32 s4, 0x7fff
	v_add3_u32 v3, v2, v3, s4
	v_lshrrev_b32_e32 v3, 16, v3
	v_mov_b32_e32 v7, 0x7fc0
	v_cmp_o_f32_e32 vcc, v2, v2
	v_cndmask_b32_e32 v2, v7, v3, vcc
	global_store_dword v[4:5], v2, off
	s_mov_b64 s[4:5], 0
.LBB8_2043:
	s_mov_b64 s[8:9], 0
.LBB8_2044:
	s_and_b64 vcc, exec, s[8:9]
	s_cbranch_vccz .LBB8_2049
; %bb.2045:
	v_cmp_eq_u16_e32 vcc, 44, v6
	s_mov_b64 s[4:5], -1
	s_cbranch_vccz .LBB8_2049
; %bb.2046:
	v_cvt_f32_f64_e32 v2, v[0:1]
	v_bfe_u32 v3, v2, 23, 8
	s_movk_i32 s4, 0xff
	v_cmp_ne_u32_e32 vcc, s4, v3
	v_mov_b32_e32 v7, 0xff
	s_and_saveexec_b64 s[8:9], vcc
; %bb.2047:
	s_mov_b32 s4, 0x3fffff
	v_lshrrev_b32_e32 v7, 23, v2
	v_and_b32_e32 v8, 0x400000, v2
	v_and_or_b32 v2, v2, s4, v3
	v_cmp_ne_u32_e32 vcc, 0, v8
	v_cmp_ne_u32_e64 s[4:5], 0, v2
	s_and_b64 s[4:5], vcc, s[4:5]
	v_cndmask_b32_e64 v2, 0, 1, s[4:5]
	v_add_u32_e32 v7, v7, v2
; %bb.2048:
	s_or_b64 exec, exec, s[8:9]
	s_mov_b64 s[4:5], 0
	global_store_byte v[4:5], v7, off
.LBB8_2049:
	s_mov_b64 s[8:9], 0
.LBB8_2050:
	s_and_b64 vcc, exec, s[8:9]
	s_cbranch_vccz .LBB8_2053
; %bb.2051:
	v_cmp_eq_u16_e32 vcc, 29, v6
	s_mov_b64 s[4:5], -1
	s_cbranch_vccz .LBB8_2053
; %bb.2052:
	v_trunc_f64_e32 v[2:3], v[0:1]
	s_movk_i32 s4, 0xffe0
	v_ldexp_f64 v[8:9], v[2:3], s4
	v_floor_f64_e32 v[8:9], v[8:9]
	v_fmac_f64_e32 v[2:3], 0xc1f00000, v[8:9]
	v_cvt_u32_f64_e32 v11, v[8:9]
	v_cvt_u32_f64_e32 v10, v[2:3]
	global_store_dwordx2 v[4:5], v[10:11], off
	s_mov_b64 s[4:5], 0
.LBB8_2053:
	s_mov_b64 s[8:9], 0
.LBB8_2054:
	s_and_b64 vcc, exec, s[8:9]
	s_cbranch_vccz .LBB8_2069
; %bb.2055:
	v_cmp_gt_i16_e32 vcc, 27, v6
	s_mov_b64 s[8:9], -1
	s_cbranch_vccnz .LBB8_2061
; %bb.2056:
	v_cmp_lt_i16_e32 vcc, 27, v6
	s_cbranch_vccz .LBB8_2058
; %bb.2057:
	v_cvt_u32_f64_e32 v2, v[0:1]
	global_store_dword v[4:5], v2, off
	s_mov_b64 s[8:9], 0
.LBB8_2058:
	s_andn2_b64 vcc, exec, s[8:9]
	s_cbranch_vccnz .LBB8_2060
; %bb.2059:
	v_cvt_u32_f64_e32 v2, v[0:1]
	global_store_short v[4:5], v2, off
.LBB8_2060:
	s_mov_b64 s[8:9], 0
.LBB8_2061:
	s_andn2_b64 vcc, exec, s[8:9]
	s_cbranch_vccnz .LBB8_2069
; %bb.2062:
	v_cvt_f32_f64_e32 v2, v[0:1]
	v_and_b32_e32 v3, 0x7fffffff, v2
	s_mov_b32 s8, 0x43800000
	v_cmp_gt_u32_e32 vcc, s8, v3
	v_mov_b32_e32 v7, 0x80
	s_and_saveexec_b64 s[8:9], vcc
	s_cbranch_execz .LBB8_2068
; %bb.2063:
	s_mov_b32 s10, 0x3bffffff
	v_cmp_lt_u32_e32 vcc, s10, v3
	s_mov_b64 s[10:11], 0
                                        ; implicit-def: $vgpr3
	s_and_saveexec_b64 s[12:13], vcc
	s_xor_b64 s[12:13], exec, s[12:13]
	s_cbranch_execz .LBB8_2163
; %bb.2064:
	v_bfe_u32 v3, v2, 20, 1
	s_mov_b32 s14, 0x487ffff
	v_add3_u32 v3, v2, v3, s14
	s_mov_b64 s[10:11], exec
	v_lshrrev_b32_e32 v3, 20, v3
	s_or_saveexec_b64 s[12:13], s[12:13]
                                        ; implicit-def: $sgpr14
	s_xor_b64 exec, exec, s[12:13]
	s_cbranch_execnz .LBB8_2164
.LBB8_2065:
	s_or_b64 exec, exec, s[12:13]
	v_mov_b32_e32 v7, s14
	s_and_saveexec_b64 s[12:13], s[10:11]
.LBB8_2066:
	v_lshrrev_b32_e32 v2, 24, v2
	s_movk_i32 s10, 0x80
	v_and_or_b32 v7, v2, s10, v3
.LBB8_2067:
	s_or_b64 exec, exec, s[12:13]
.LBB8_2068:
	s_or_b64 exec, exec, s[8:9]
	global_store_byte v[4:5], v7, off
.LBB8_2069:
	s_mov_b64 s[8:9], 0
.LBB8_2070:
	s_and_b64 vcc, exec, s[8:9]
	s_cbranch_vccz .LBB8_2110
; %bb.2071:
	v_cmp_lt_i16_e32 vcc, 22, v6
	s_mov_b64 s[6:7], -1
	s_cbranch_vccz .LBB8_2103
; %bb.2072:
	v_cmp_gt_i16_e32 vcc, 24, v6
	s_cbranch_vccnz .LBB8_2092
; %bb.2073:
	v_cmp_lt_i16_e32 vcc, 24, v6
	s_cbranch_vccz .LBB8_2081
; %bb.2074:
	v_cvt_f32_f64_e32 v2, v[0:1]
	v_and_b32_e32 v3, 0x7fffffff, v2
	s_mov_b32 s6, 0x47800000
	v_cmp_gt_u32_e32 vcc, s6, v3
	v_mov_b32_e32 v7, 0x80
	s_and_saveexec_b64 s[6:7], vcc
	s_cbranch_execz .LBB8_2080
; %bb.2075:
	s_mov_b32 s8, 0x37ffffff
	v_cmp_lt_u32_e32 vcc, s8, v3
	s_mov_b64 s[8:9], 0
                                        ; implicit-def: $vgpr3
	s_and_saveexec_b64 s[10:11], vcc
	s_xor_b64 s[10:11], exec, s[10:11]
	s_cbranch_execz .LBB8_2166
; %bb.2076:
	v_bfe_u32 v3, v2, 21, 1
	s_mov_b32 s12, 0x88fffff
	v_add3_u32 v3, v2, v3, s12
	s_mov_b64 s[8:9], exec
	v_lshrrev_b32_e32 v3, 21, v3
	s_or_saveexec_b64 s[10:11], s[10:11]
                                        ; implicit-def: $sgpr12
	s_xor_b64 exec, exec, s[10:11]
	s_cbranch_execnz .LBB8_2167
.LBB8_2077:
	s_or_b64 exec, exec, s[10:11]
	v_mov_b32_e32 v7, s12
	s_and_saveexec_b64 s[10:11], s[8:9]
.LBB8_2078:
	v_lshrrev_b32_e32 v2, 24, v2
	s_movk_i32 s8, 0x80
	v_and_or_b32 v7, v2, s8, v3
.LBB8_2079:
	s_or_b64 exec, exec, s[10:11]
.LBB8_2080:
	s_or_b64 exec, exec, s[6:7]
	s_mov_b64 s[6:7], 0
	global_store_byte v[4:5], v7, off
.LBB8_2081:
	s_and_b64 vcc, exec, s[6:7]
	s_cbranch_vccz .LBB8_2091
; %bb.2082:
	v_cvt_f32_f64_e32 v2, v[0:1]
	v_and_b32_e32 v7, 0x7fffffff, v2
	s_mov_b32 s6, 0x43f00000
	v_cmp_gt_u32_e32 vcc, s6, v7
                                        ; implicit-def: $vgpr3
	s_and_saveexec_b64 s[6:7], vcc
	s_xor_b64 s[6:7], exec, s[6:7]
	s_cbranch_execz .LBB8_2088
; %bb.2083:
	s_mov_b32 s8, 0x3c7fffff
	v_cmp_lt_u32_e32 vcc, s8, v7
                                        ; implicit-def: $vgpr3
	s_and_saveexec_b64 s[8:9], vcc
	s_xor_b64 s[8:9], exec, s[8:9]
; %bb.2084:
	v_bfe_u32 v3, v2, 20, 1
	s_mov_b32 s10, 0x407ffff
	v_add3_u32 v3, v2, v3, s10
	v_lshrrev_b32_e32 v7, 20, v3
	v_and_b32_e32 v3, 0xff00000, v3
	s_mov_b32 s10, 0x7f00000
	v_mov_b32_e32 v8, 0x7e
	v_cmp_ne_u32_e32 vcc, s10, v3
	v_cndmask_b32_e32 v3, v8, v7, vcc
; %bb.2085:
	s_andn2_saveexec_b64 s[8:9], s[8:9]
; %bb.2086:
	s_mov_b32 s10, 0x46800000
	v_add_f32_e64 v3, |v2|, s10
; %bb.2087:
	s_or_b64 exec, exec, s[8:9]
                                        ; implicit-def: $vgpr7
.LBB8_2088:
	s_andn2_saveexec_b64 s[6:7], s[6:7]
; %bb.2089:
	s_mov_b32 s8, 0x7f800000
	v_mov_b32_e32 v3, 0x7e
	v_mov_b32_e32 v8, 0x7f
	v_cmp_lt_u32_e32 vcc, s8, v7
	v_cndmask_b32_e32 v3, v3, v8, vcc
; %bb.2090:
	s_or_b64 exec, exec, s[6:7]
	v_lshrrev_b32_e32 v2, 24, v2
	s_movk_i32 s6, 0x80
	v_and_or_b32 v2, v2, s6, v3
	global_store_byte v[4:5], v2, off
.LBB8_2091:
	s_mov_b64 s[6:7], 0
.LBB8_2092:
	s_andn2_b64 vcc, exec, s[6:7]
	s_cbranch_vccnz .LBB8_2102
; %bb.2093:
	v_cvt_f32_f64_e32 v2, v[0:1]
	v_and_b32_e32 v7, 0x7fffffff, v2
	s_mov_b32 s6, 0x47800000
	v_cmp_gt_u32_e32 vcc, s6, v7
                                        ; implicit-def: $vgpr3
	s_and_saveexec_b64 s[6:7], vcc
	s_xor_b64 s[6:7], exec, s[6:7]
	s_cbranch_execz .LBB8_2099
; %bb.2094:
	s_mov_b32 s8, 0x387fffff
	v_cmp_lt_u32_e32 vcc, s8, v7
                                        ; implicit-def: $vgpr3
	s_and_saveexec_b64 s[8:9], vcc
	s_xor_b64 s[8:9], exec, s[8:9]
; %bb.2095:
	v_bfe_u32 v3, v2, 21, 1
	s_mov_b32 s10, 0x80fffff
	v_add3_u32 v3, v2, v3, s10
	v_lshrrev_b32_e32 v3, 21, v3
; %bb.2096:
	s_andn2_saveexec_b64 s[8:9], s[8:9]
; %bb.2097:
	s_mov_b32 s10, 0x43000000
	v_add_f32_e64 v3, |v2|, s10
; %bb.2098:
	s_or_b64 exec, exec, s[8:9]
                                        ; implicit-def: $vgpr7
.LBB8_2099:
	s_andn2_saveexec_b64 s[6:7], s[6:7]
; %bb.2100:
	s_mov_b32 s8, 0x7f800000
	v_mov_b32_e32 v3, 0x7c
	v_mov_b32_e32 v8, 0x7f
	v_cmp_lt_u32_e32 vcc, s8, v7
	v_cndmask_b32_e32 v3, v3, v8, vcc
; %bb.2101:
	s_or_b64 exec, exec, s[6:7]
	v_lshrrev_b32_e32 v2, 24, v2
	s_movk_i32 s6, 0x80
	v_and_or_b32 v2, v2, s6, v3
	global_store_byte v[4:5], v2, off
.LBB8_2102:
	s_mov_b64 s[6:7], 0
.LBB8_2103:
	s_andn2_b64 vcc, exec, s[6:7]
	s_mov_b64 s[6:7], 0
	s_cbranch_vccnz .LBB8_2110
; %bb.2104:
	v_cmp_lt_i16_e32 vcc, 14, v6
	s_mov_b64 s[8:9], -1
	s_cbranch_vccz .LBB8_2108
; %bb.2105:
	v_cmp_eq_u16_e32 vcc, 15, v6
	s_mov_b64 s[4:5], -1
	s_cbranch_vccz .LBB8_2107
; %bb.2106:
	v_cvt_f32_f64_e32 v2, v[0:1]
	v_bfe_u32 v3, v2, 16, 1
	s_movk_i32 s4, 0x7fff
	v_add3_u32 v3, v2, v3, s4
	v_lshrrev_b32_e32 v3, 16, v3
	v_mov_b32_e32 v7, 0x7fc0
	v_cmp_o_f32_e32 vcc, v2, v2
	v_cndmask_b32_e32 v2, v7, v3, vcc
	global_store_short v[4:5], v2, off
	s_mov_b64 s[4:5], 0
.LBB8_2107:
	s_mov_b64 s[8:9], 0
.LBB8_2108:
	s_and_b64 vcc, exec, s[8:9]
	s_cbranch_vccz .LBB8_2110
; %bb.2109:
	v_cmp_ne_u16_e64 s[4:5], 11, v6
	s_mov_b64 s[6:7], -1
.LBB8_2110:
	s_and_b64 vcc, exec, s[4:5]
	s_cbranch_vccnz .LBB8_2165
.LBB8_2111:
	s_mov_b64 s[4:5], 0
	s_branch .LBB8_2113
.LBB8_2112:
	s_mov_b64 s[4:5], 0
	s_mov_b64 s[6:7], 0
                                        ; implicit-def: $vgpr4_vgpr5
                                        ; implicit-def: $vgpr6
                                        ; implicit-def: $vgpr0_vgpr1
.LBB8_2113:
	s_and_b64 s[52:53], s[6:7], exec
	s_andn2_b64 s[6:7], s[44:45], exec
	s_and_b64 s[8:9], s[36:37], exec
	s_and_b64 s[4:5], s[4:5], exec
	s_or_b64 s[44:45], s[6:7], s[8:9]
.LBB8_2114:
	s_or_b64 exec, exec, s[46:47]
	s_and_saveexec_b64 s[6:7], s[44:45]
	s_cbranch_execz .LBB8_2117
; %bb.2115:
	; divergent unreachable
	s_or_b64 exec, exec, s[6:7]
	s_and_saveexec_b64 s[6:7], s[52:53]
	s_xor_b64 s[6:7], exec, s[6:7]
	s_cbranch_execnz .LBB8_2118
.LBB8_2116:
	s_or_b64 exec, exec, s[6:7]
	s_and_saveexec_b64 s[6:7], s[4:5]
	s_cbranch_execnz .LBB8_2119
	s_branch .LBB8_2156
.LBB8_2117:
	s_or_b64 exec, exec, s[6:7]
	s_and_saveexec_b64 s[6:7], s[52:53]
	s_xor_b64 s[6:7], exec, s[6:7]
	s_cbranch_execz .LBB8_2116
.LBB8_2118:
	s_waitcnt vmcnt(0)
	v_cmp_neq_f64_e32 vcc, 0, v[0:1]
	v_cndmask_b32_e64 v2, 0, 1, vcc
	global_store_byte v[4:5], v2, off
	s_or_b64 exec, exec, s[6:7]
	s_and_saveexec_b64 s[6:7], s[4:5]
	s_cbranch_execz .LBB8_2156
.LBB8_2119:
	v_cmp_gt_i16_e32 vcc, 5, v6
	s_mov_b64 s[4:5], -1
	s_cbranch_vccnz .LBB8_2140
; %bb.2120:
	v_cmp_gt_i16_e32 vcc, 8, v6
	s_cbranch_vccnz .LBB8_2130
; %bb.2121:
	v_cmp_gt_i16_e32 vcc, 9, v6
	s_cbranch_vccnz .LBB8_2127
; %bb.2122:
	v_cmp_lt_i16_e32 vcc, 9, v6
	s_cbranch_vccz .LBB8_2124
; %bb.2123:
	s_waitcnt vmcnt(0)
	v_mov_b32_e32 v2, 0
	v_mov_b32_e32 v3, v2
	global_store_dwordx4 v[4:5], v[0:3], off
	s_mov_b64 s[4:5], 0
.LBB8_2124:
	s_andn2_b64 vcc, exec, s[4:5]
	s_cbranch_vccnz .LBB8_2126
; %bb.2125:
	s_waitcnt vmcnt(0)
	v_cvt_f32_f64_e32 v2, v[0:1]
	v_mov_b32_e32 v3, 0
	global_store_dwordx2 v[4:5], v[2:3], off
.LBB8_2126:
	s_mov_b64 s[4:5], 0
.LBB8_2127:
	s_andn2_b64 vcc, exec, s[4:5]
	s_cbranch_vccnz .LBB8_2129
; %bb.2128:
	s_waitcnt vmcnt(0)
	v_cvt_f32_f64_e32 v2, v[0:1]
	v_cvt_f16_f32_e32 v2, v2
	global_store_dword v[4:5], v2, off
.LBB8_2129:
	s_mov_b64 s[4:5], 0
.LBB8_2130:
	s_andn2_b64 vcc, exec, s[4:5]
	s_cbranch_vccnz .LBB8_2139
; %bb.2131:
	v_cmp_gt_i16_e32 vcc, 6, v6
	s_mov_b64 s[4:5], -1
	s_cbranch_vccnz .LBB8_2137
; %bb.2132:
	v_cmp_lt_i16_e32 vcc, 6, v6
	s_cbranch_vccz .LBB8_2134
; %bb.2133:
	s_waitcnt vmcnt(0)
	global_store_dwordx2 v[4:5], v[0:1], off
	s_mov_b64 s[4:5], 0
.LBB8_2134:
	s_andn2_b64 vcc, exec, s[4:5]
	s_cbranch_vccnz .LBB8_2136
; %bb.2135:
	s_waitcnt vmcnt(0)
	v_cvt_f32_f64_e32 v2, v[0:1]
	global_store_dword v[4:5], v2, off
.LBB8_2136:
	s_mov_b64 s[4:5], 0
.LBB8_2137:
	s_andn2_b64 vcc, exec, s[4:5]
	s_cbranch_vccnz .LBB8_2139
; %bb.2138:
	s_waitcnt vmcnt(0)
	v_cvt_f32_f64_e32 v2, v[0:1]
	v_cvt_f16_f32_e32 v2, v2
	global_store_short v[4:5], v2, off
.LBB8_2139:
	s_mov_b64 s[4:5], 0
.LBB8_2140:
	s_andn2_b64 vcc, exec, s[4:5]
	s_cbranch_vccnz .LBB8_2156
; %bb.2141:
	v_cmp_gt_i16_e32 vcc, 2, v6
	s_mov_b64 s[4:5], -1
	s_cbranch_vccnz .LBB8_2151
; %bb.2142:
	v_cmp_gt_i16_e32 vcc, 3, v6
	s_cbranch_vccnz .LBB8_2148
; %bb.2143:
	v_cmp_lt_i16_e32 vcc, 3, v6
	s_cbranch_vccz .LBB8_2145
; %bb.2144:
	s_waitcnt vmcnt(0)
	v_trunc_f64_e32 v[2:3], v[0:1]
	s_movk_i32 s4, 0xffe0
	v_ldexp_f64 v[8:9], v[2:3], s4
	v_floor_f64_e32 v[8:9], v[8:9]
	v_fmac_f64_e32 v[2:3], 0xc1f00000, v[8:9]
	v_cvt_i32_f64_e32 v11, v[8:9]
	v_cvt_u32_f64_e32 v10, v[2:3]
	global_store_dwordx2 v[4:5], v[10:11], off
	s_mov_b64 s[4:5], 0
.LBB8_2145:
	s_andn2_b64 vcc, exec, s[4:5]
	s_cbranch_vccnz .LBB8_2147
; %bb.2146:
	s_waitcnt vmcnt(0)
	v_cvt_i32_f64_e32 v2, v[0:1]
	global_store_dword v[4:5], v2, off
.LBB8_2147:
	s_mov_b64 s[4:5], 0
.LBB8_2148:
	s_andn2_b64 vcc, exec, s[4:5]
	s_cbranch_vccnz .LBB8_2150
; %bb.2149:
	s_waitcnt vmcnt(0)
	v_cvt_i32_f64_e32 v2, v[0:1]
	global_store_short v[4:5], v2, off
.LBB8_2150:
	s_mov_b64 s[4:5], 0
.LBB8_2151:
	s_andn2_b64 vcc, exec, s[4:5]
	s_cbranch_vccnz .LBB8_2156
; %bb.2152:
	v_cmp_lt_i16_e32 vcc, 0, v6
	s_mov_b64 s[4:5], -1
	s_cbranch_vccz .LBB8_2154
; %bb.2153:
	s_waitcnt vmcnt(0)
	v_cvt_i32_f64_e32 v2, v[0:1]
	global_store_byte v[4:5], v2, off
	s_mov_b64 s[4:5], 0
.LBB8_2154:
	s_andn2_b64 vcc, exec, s[4:5]
	s_cbranch_vccnz .LBB8_2156
; %bb.2155:
	s_waitcnt vmcnt(0)
	v_trunc_f64_e32 v[0:1], v[0:1]
	s_movk_i32 s4, 0xffe0
	v_ldexp_f64 v[2:3], v[0:1], s4
	v_floor_f64_e32 v[2:3], v[2:3]
	v_fmac_f64_e32 v[0:1], 0xc1f00000, v[2:3]
	v_cvt_u32_f64_e32 v0, v[0:1]
	global_store_byte v[4:5], v0, off
	s_endpgm
.LBB8_2156:
	s_endpgm
.LBB8_2157:
	s_mov_b64 s[6:7], 0
	s_mov_b64 s[4:5], -1
	s_branch .LBB8_2113
.LBB8_2158:
	s_or_saveexec_b64 s[12:13], s[12:13]
                                        ; implicit-def: $sgpr14
	s_xor_b64 exec, exec, s[12:13]
	s_cbranch_execz .LBB8_1946
.LBB8_2159:
	s_mov_b32 s14, 0x46000000
	v_add_f32_e64 v3, |v2|, s14
	v_and_b32_e32 v3, 0xff, v3
	v_cmp_ne_u32_e32 vcc, 0, v3
	s_andn2_b64 s[10:11], s[10:11], exec
	s_and_b64 s[16:17], vcc, exec
	s_mov_b32 s14, 0
	s_or_b64 s[10:11], s[10:11], s[16:17]
	s_or_b64 exec, exec, s[12:13]
	v_mov_b32_e32 v6, s14
	s_and_saveexec_b64 s[12:13], s[10:11]
	s_cbranch_execnz .LBB8_1947
	s_branch .LBB8_1948
.LBB8_2160:
	s_trap 2
	s_or_b64 s[36:37], s[36:37], exec
	s_cbranch_execz .LBB8_1994
	s_branch .LBB8_1995
.LBB8_2161:
	s_or_saveexec_b64 s[10:11], s[10:11]
                                        ; implicit-def: $sgpr12
	s_xor_b64 exec, exec, s[10:11]
	s_cbranch_execz .LBB8_1959
.LBB8_2162:
	s_mov_b32 s12, 0x42800000
	v_add_f32_e64 v3, |v2|, s12
	v_and_b32_e32 v3, 0xff, v3
	v_cmp_ne_u32_e32 vcc, 0, v3
	s_andn2_b64 s[8:9], s[8:9], exec
	s_and_b64 s[14:15], vcc, exec
	s_mov_b32 s12, 0
	s_or_b64 s[8:9], s[8:9], s[14:15]
	s_or_b64 exec, exec, s[10:11]
	v_mov_b32_e32 v6, s12
	s_and_saveexec_b64 s[10:11], s[8:9]
	s_cbranch_execnz .LBB8_1960
	s_branch .LBB8_1961
.LBB8_2163:
	s_or_saveexec_b64 s[12:13], s[12:13]
                                        ; implicit-def: $sgpr14
	s_xor_b64 exec, exec, s[12:13]
	s_cbranch_execz .LBB8_2065
.LBB8_2164:
	s_mov_b32 s14, 0x46000000
	v_add_f32_e64 v3, |v2|, s14
	v_and_b32_e32 v3, 0xff, v3
	v_cmp_ne_u32_e32 vcc, 0, v3
	s_andn2_b64 s[10:11], s[10:11], exec
	s_and_b64 s[16:17], vcc, exec
	s_mov_b32 s14, 0
	s_or_b64 s[10:11], s[10:11], s[16:17]
	s_or_b64 exec, exec, s[12:13]
	v_mov_b32_e32 v7, s14
	s_and_saveexec_b64 s[12:13], s[10:11]
	s_cbranch_execnz .LBB8_2066
	s_branch .LBB8_2067
.LBB8_2165:
	s_mov_b64 s[6:7], 0
	s_or_b64 s[36:37], s[36:37], exec
	s_trap 2
	s_branch .LBB8_2111
.LBB8_2166:
	s_or_saveexec_b64 s[10:11], s[10:11]
                                        ; implicit-def: $sgpr12
	s_xor_b64 exec, exec, s[10:11]
	s_cbranch_execz .LBB8_2077
.LBB8_2167:
	s_mov_b32 s12, 0x42800000
	v_add_f32_e64 v3, |v2|, s12
	v_and_b32_e32 v3, 0xff, v3
	v_cmp_ne_u32_e32 vcc, 0, v3
	s_andn2_b64 s[8:9], s[8:9], exec
	s_and_b64 s[14:15], vcc, exec
	s_mov_b32 s12, 0
	s_or_b64 s[8:9], s[8:9], s[14:15]
	s_or_b64 exec, exec, s[10:11]
	v_mov_b32_e32 v7, s12
	s_and_saveexec_b64 s[10:11], s[8:9]
	s_cbranch_execnz .LBB8_2078
	s_branch .LBB8_2079
	.section	.rodata,"a",@progbits
	.p2align	6, 0x0
	.amdhsa_kernel _ZN2at6native32elementwise_kernel_manual_unrollILi128ELi4EZNS0_15gpu_kernel_implIZZZNS0_12_GLOBAL__N_121bessel_j1_kernel_cudaERNS_18TensorIteratorBaseEENKUlvE_clEvENKUlvE_clEvEUldE_EEvS5_RKT_EUlibE0_EEviT1_
		.amdhsa_group_segment_fixed_size 0
		.amdhsa_private_segment_fixed_size 16
		.amdhsa_kernarg_size 360
		.amdhsa_user_sgpr_count 8
		.amdhsa_user_sgpr_private_segment_buffer 1
		.amdhsa_user_sgpr_dispatch_ptr 0
		.amdhsa_user_sgpr_queue_ptr 0
		.amdhsa_user_sgpr_kernarg_segment_ptr 1
		.amdhsa_user_sgpr_dispatch_id 0
		.amdhsa_user_sgpr_flat_scratch_init 1
		.amdhsa_user_sgpr_kernarg_preload_length 0
		.amdhsa_user_sgpr_kernarg_preload_offset 0
		.amdhsa_user_sgpr_private_segment_size 0
		.amdhsa_uses_dynamic_stack 1
		.amdhsa_system_sgpr_private_segment_wavefront_offset 1
		.amdhsa_system_sgpr_workgroup_id_x 1
		.amdhsa_system_sgpr_workgroup_id_y 0
		.amdhsa_system_sgpr_workgroup_id_z 0
		.amdhsa_system_sgpr_workgroup_info 0
		.amdhsa_system_vgpr_workitem_id 0
		.amdhsa_next_free_vgpr 64
		.amdhsa_next_free_sgpr 86
		.amdhsa_accum_offset 64
		.amdhsa_reserve_vcc 1
		.amdhsa_reserve_flat_scratch 1
		.amdhsa_float_round_mode_32 0
		.amdhsa_float_round_mode_16_64 0
		.amdhsa_float_denorm_mode_32 3
		.amdhsa_float_denorm_mode_16_64 3
		.amdhsa_dx10_clamp 1
		.amdhsa_ieee_mode 1
		.amdhsa_fp16_overflow 0
		.amdhsa_tg_split 0
		.amdhsa_exception_fp_ieee_invalid_op 0
		.amdhsa_exception_fp_denorm_src 0
		.amdhsa_exception_fp_ieee_div_zero 0
		.amdhsa_exception_fp_ieee_overflow 0
		.amdhsa_exception_fp_ieee_underflow 0
		.amdhsa_exception_fp_ieee_inexact 0
		.amdhsa_exception_int_div_zero 0
	.end_amdhsa_kernel
	.section	.text._ZN2at6native32elementwise_kernel_manual_unrollILi128ELi4EZNS0_15gpu_kernel_implIZZZNS0_12_GLOBAL__N_121bessel_j1_kernel_cudaERNS_18TensorIteratorBaseEENKUlvE_clEvENKUlvE_clEvEUldE_EEvS5_RKT_EUlibE0_EEviT1_,"axG",@progbits,_ZN2at6native32elementwise_kernel_manual_unrollILi128ELi4EZNS0_15gpu_kernel_implIZZZNS0_12_GLOBAL__N_121bessel_j1_kernel_cudaERNS_18TensorIteratorBaseEENKUlvE_clEvENKUlvE_clEvEUldE_EEvS5_RKT_EUlibE0_EEviT1_,comdat
.Lfunc_end8:
	.size	_ZN2at6native32elementwise_kernel_manual_unrollILi128ELi4EZNS0_15gpu_kernel_implIZZZNS0_12_GLOBAL__N_121bessel_j1_kernel_cudaERNS_18TensorIteratorBaseEENKUlvE_clEvENKUlvE_clEvEUldE_EEvS5_RKT_EUlibE0_EEviT1_, .Lfunc_end8-_ZN2at6native32elementwise_kernel_manual_unrollILi128ELi4EZNS0_15gpu_kernel_implIZZZNS0_12_GLOBAL__N_121bessel_j1_kernel_cudaERNS_18TensorIteratorBaseEENKUlvE_clEvENKUlvE_clEvEUldE_EEvS5_RKT_EUlibE0_EEviT1_
                                        ; -- End function
	.section	.AMDGPU.csdata,"",@progbits
; Kernel info:
; codeLenInByte = 40928
; NumSgprs: 92
; NumVgprs: 64
; NumAgprs: 0
; TotalNumVgprs: 64
; ScratchSize: 16
; MemoryBound: 1
; FloatMode: 240
; IeeeMode: 1
; LDSByteSize: 0 bytes/workgroup (compile time only)
; SGPRBlocks: 11
; VGPRBlocks: 7
; NumSGPRsForWavesPerEU: 92
; NumVGPRsForWavesPerEU: 64
; AccumOffset: 64
; Occupancy: 8
; WaveLimiterHint : 1
; COMPUTE_PGM_RSRC2:SCRATCH_EN: 1
; COMPUTE_PGM_RSRC2:USER_SGPR: 8
; COMPUTE_PGM_RSRC2:TRAP_HANDLER: 0
; COMPUTE_PGM_RSRC2:TGID_X_EN: 1
; COMPUTE_PGM_RSRC2:TGID_Y_EN: 0
; COMPUTE_PGM_RSRC2:TGID_Z_EN: 0
; COMPUTE_PGM_RSRC2:TIDIG_COMP_CNT: 0
; COMPUTE_PGM_RSRC3_GFX90A:ACCUM_OFFSET: 15
; COMPUTE_PGM_RSRC3_GFX90A:TG_SPLIT: 0
	.text
	.p2align	2                               ; -- Begin function _Z17bessel_j1_forwardIfET_S0_
	.type	_Z17bessel_j1_forwardIfET_S0_,@function
_Z17bessel_j1_forwardIfET_S0_:          ; @_Z17bessel_j1_forwardIfET_S0_
; %bb.0:
	s_waitcnt vmcnt(0) expcnt(0) lgkmcnt(0)
	s_mov_b32 s4, s33
	s_mov_b32 s33, s32
	s_or_saveexec_b64 s[6:7], -1
	buffer_store_dword v40, off, s[0:3], s33 ; 4-byte Folded Spill
	s_mov_b64 exec, s[6:7]
	v_writelane_b32 v40, s4, 4
	s_addk_i32 s32, 0x400
	v_writelane_b32 v40, s34, 0
	v_writelane_b32 v40, s35, 1
	;; [unrolled: 1-line block ×4, first 2 shown]
	v_cmp_ngt_f32_e32 vcc, 0, v0
                                        ; implicit-def: $vgpr1
	s_and_saveexec_b64 s[4:5], vcc
	s_xor_b64 s[10:11], exec, s[4:5]
	s_cbranch_execz .LBB9_14
; %bb.1:
	s_mov_b32 s4, 0x40a00000
	v_cmp_ge_f32_e32 vcc, s4, v0
                                        ; implicit-def: $vgpr1
	s_and_saveexec_b64 s[4:5], vcc
	s_xor_b64 s[4:5], exec, s[4:5]
	s_cbranch_execz .LBB9_3
; %bb.2:
	v_mul_f32_e32 v2, v0, v0
	v_mov_b32_e32 v1, 0x441b3589
	v_fmac_f32_e32 v1, 0, v2
	v_mov_b32_e32 v3, 0x487af6d0
	v_fmac_f32_e32 v3, v2, v1
	;; [unrolled: 2-line block ×4, first 2 shown]
	s_mov_b32 s6, 0xce5691e2
	v_mul_f32_e32 v4, 0, v2
	v_mul_f32_e32 v5, v2, v3
	s_mov_b32 s7, 0x548a37dc
	v_pk_add_f32 v[4:5], v[4:5], s[6:7]
	s_mov_b32 s6, 0x52d295d0
	s_mov_b32 s7, 0x58325852
	v_pk_fma_f32 v[4:5], v[2:3], v[4:5], s[6:7] op_sel_hi:[0,1,1]
	s_mov_b32 s6, 0xd6845497
	s_mov_b32 s7, 0x5b9f0600
	v_pk_fma_f32 v[4:5], v[2:3], v[4:5], s[6:7] op_sel_hi:[0,1,1]
	;; [unrolled: 3-line block ×3, first 2 shown]
	v_div_scale_f32 v1, s[6:7], v5, v5, v4
	v_rcp_f32_e32 v3, v1
	s_mov_b32 s6, 0xc244dfb3
	s_mov_b32 s7, 0xc16ae95a
	v_fma_f32 v6, -v1, v3, 1.0
	v_fmac_f32_e32 v3, v6, v3
	v_div_scale_f32 v6, vcc, v4, v5, v4
	v_mul_f32_e32 v7, v6, v3
	v_fma_f32 v8, -v1, v7, v6
	v_fmac_f32_e32 v7, v8, v3
	v_fma_f32 v1, -v1, v7, v6
	v_div_fmas_f32 v1, v1, v3, v7
	v_div_fixup_f32 v1, v1, v5, v4
	v_mul_f32_e32 v3, v1, v0
	v_pk_add_f32 v[0:1], v[2:3], s[6:7] op_sel_hi:[0,1]
	v_mul_f32_e32 v1, v1, v3
	v_mul_f32_e32 v1, v0, v1
                                        ; implicit-def: $vgpr0
.LBB9_3:
	s_andn2_saveexec_b64 s[12:13], s[4:5]
	s_cbranch_execz .LBB9_13
; %bb.4:
	v_add_f32_e32 v1, 0xc016cbe4, v0
	v_and_b32_e32 v2, 0x7fffffff, v1
	s_brev_b32 s4, 18
	v_cmp_nlt_f32_e64 s[14:15], |v1|, s4
	v_lshrrev_b32_e32 v7, 23, v2
                                        ; implicit-def: $vgpr3
                                        ; implicit-def: $vgpr4
	s_and_saveexec_b64 s[4:5], s[14:15]
	s_xor_b64 s[16:17], exec, s[4:5]
	s_cbranch_execz .LBB9_6
; %bb.5:
	v_add_u32_e32 v3, 0xffffff88, v7
	v_not_b32_e32 v4, 63
	v_cmp_lt_u32_e32 vcc, 63, v3
	v_cndmask_b32_e32 v4, 0, v4, vcc
	v_add_u32_e32 v3, v4, v3
	v_not_b32_e32 v4, 31
	v_cmp_lt_u32_e64 s[4:5], 31, v3
	v_cndmask_b32_e64 v6, 0, v4, s[4:5]
	v_add_u32_e32 v3, v6, v3
	v_cmp_lt_u32_e64 s[6:7], 31, v3
	v_cndmask_b32_e64 v4, 0, v4, s[6:7]
	v_add_u32_e32 v3, v4, v3
	v_and_b32_e32 v4, 0x7fffff, v2
	v_or_b32_e32 v6, 0x800000, v4
	s_mov_b32 s8, 0xfe5163ab
	v_mad_u64_u32 v[8:9], s[8:9], v6, s8, 0
	v_mov_b32_e32 v5, 0
	v_mov_b32_e32 v4, v9
	s_mov_b32 s8, 0x3c439041
	v_mad_u64_u32 v[10:11], s[8:9], v6, s8, v[4:5]
	v_mov_b32_e32 v4, v11
	s_mov_b32 s8, 0xdb629599
	v_mad_u64_u32 v[12:13], s[8:9], v6, s8, v[4:5]
	;; [unrolled: 3-line block ×6, first 2 shown]
	v_cndmask_b32_e32 v9, v18, v14, vcc
	v_cndmask_b32_e32 v4, v4, v16, vcc
	;; [unrolled: 1-line block ×3, first 2 shown]
	v_cndmask_b32_e64 v6, v4, v9, s[4:5]
	v_cndmask_b32_e64 v4, v5, v4, s[4:5]
	v_cndmask_b32_e32 v5, v16, v12, vcc
	v_cndmask_b32_e64 v9, v9, v5, s[4:5]
	v_cndmask_b32_e64 v4, v4, v6, s[6:7]
	;; [unrolled: 1-line block ×3, first 2 shown]
	v_sub_u32_e32 v11, 32, v3
	v_alignbit_b32 v13, v4, v6, v11
	v_cmp_eq_u32_e64 s[8:9], 0, v3
	v_cndmask_b32_e64 v3, v13, v4, s[8:9]
	v_cndmask_b32_e32 v4, v14, v10, vcc
	v_cndmask_b32_e64 v5, v5, v4, s[4:5]
	v_cndmask_b32_e64 v9, v9, v5, s[6:7]
	v_alignbit_b32 v10, v6, v9, v11
	v_cndmask_b32_e64 v6, v10, v6, s[8:9]
	v_bfe_u32 v14, v3, 29, 1
	v_cndmask_b32_e32 v8, v12, v8, vcc
	v_alignbit_b32 v10, v3, v6, 30
	v_sub_u32_e32 v15, 0, v14
	v_cndmask_b32_e64 v4, v4, v8, s[4:5]
	v_xor_b32_e32 v16, v10, v15
	v_cndmask_b32_e64 v4, v5, v4, s[6:7]
	v_alignbit_b32 v5, v9, v4, v11
	v_ffbh_u32_e32 v8, v16
	v_cndmask_b32_e64 v5, v5, v9, s[8:9]
	v_add_u32_e32 v8, 1, v8
	v_cmp_ne_u32_e32 vcc, v10, v15
	v_alignbit_b32 v6, v6, v5, 30
	v_cndmask_b32_e32 v8, 33, v8, vcc
	v_alignbit_b32 v4, v5, v4, 30
	v_xor_b32_e32 v6, v6, v15
	v_sub_u32_e32 v9, 32, v8
	v_xor_b32_e32 v4, v4, v15
	v_alignbit_b32 v10, v16, v6, v9
	v_alignbit_b32 v4, v6, v4, v9
	;; [unrolled: 1-line block ×3, first 2 shown]
	v_ffbh_u32_e32 v6, v5
	v_min_u32_e32 v6, 32, v6
	v_lshrrev_b32_e32 v13, 29, v3
	v_sub_u32_e32 v9, 31, v6
	v_alignbit_b32 v4, v5, v4, v9
	v_lshlrev_b32_e32 v5, 31, v13
	v_or_b32_e32 v9, 0x33800000, v5
	v_add_lshl_u32 v6, v6, v8, 23
	v_lshrrev_b32_e32 v4, 9, v4
	v_sub_u32_e32 v6, v9, v6
	v_or_b32_e32 v4, v6, v4
	v_alignbit_b32 v6, v8, v10, 9
	v_or_b32_e32 v5, v6, v5
	v_xor_b32_e32 v5, 1.0, v5
	s_mov_b32 s4, 0x3fc90fda
	v_mul_f32_e32 v6, 0x3fc90fda, v5
	v_fma_f32 v8, v5, s4, -v6
	v_fmac_f32_e32 v8, 0x33a22168, v5
	v_fmac_f32_e32 v8, 0x3fc90fda, v4
	v_lshrrev_b32_e32 v3, 30, v3
	v_add_f32_e32 v4, v6, v8
	v_add_u32_e32 v3, v14, v3
	s_andn2_saveexec_b64 s[4:5], s[16:17]
	s_branch .LBB9_7
.LBB9_6:
	s_andn2_saveexec_b64 s[4:5], s[16:17]
.LBB9_7:
	s_mov_b32 s6, 0x3f22f983
	v_mul_f32_e64 v3, |v1|, s6
	v_rndne_f32_e32 v5, v3
	s_mov_b32 s6, 0xbfc90fda
	v_cvt_i32_f32_e32 v3, v5
	v_fma_f32 v4, v5, s6, |v1|
	v_fmac_f32_e32 v4, 0xb3a22168, v5
	v_fmac_f32_e32 v4, 0xa7c234c4, v5
; %bb.8:
	s_or_b64 exec, exec, s[4:5]
                                        ; implicit-def: $vgpr5
                                        ; implicit-def: $vgpr6
	s_and_saveexec_b64 s[4:5], s[14:15]
	s_xor_b64 s[14:15], exec, s[4:5]
	s_cbranch_execz .LBB9_10
; %bb.9:
	v_add_u32_e32 v5, 0xffffff88, v7
	v_not_b32_e32 v6, 63
	v_cmp_lt_u32_e32 vcc, 63, v5
	v_cndmask_b32_e32 v6, 0, v6, vcc
	v_add_u32_e32 v5, v6, v5
	v_not_b32_e32 v6, 31
	v_cmp_lt_u32_e64 s[4:5], 31, v5
	v_cndmask_b32_e64 v8, 0, v6, s[4:5]
	v_add_u32_e32 v5, v8, v5
	v_cmp_lt_u32_e64 s[6:7], 31, v5
	v_cndmask_b32_e64 v6, 0, v6, s[6:7]
	v_add_u32_e32 v5, v6, v5
	v_and_b32_e32 v6, 0x7fffff, v2
	v_or_b32_e32 v20, 0x800000, v6
	s_mov_b32 s8, 0xfe5163ab
	v_mad_u64_u32 v[8:9], s[8:9], v20, s8, 0
	v_mov_b32_e32 v7, 0
	v_mov_b32_e32 v6, v9
	s_mov_b32 s8, 0x3c439041
	v_mad_u64_u32 v[10:11], s[8:9], v20, s8, v[6:7]
	v_mov_b32_e32 v6, v11
	s_mov_b32 s8, 0xdb629599
	v_mad_u64_u32 v[12:13], s[8:9], v20, s8, v[6:7]
	;; [unrolled: 3-line block ×6, first 2 shown]
	v_cndmask_b32_e32 v9, v18, v14, vcc
	v_cndmask_b32_e32 v6, v6, v16, vcc
	;; [unrolled: 1-line block ×3, first 2 shown]
	v_cndmask_b32_e64 v11, v6, v9, s[4:5]
	v_cndmask_b32_e64 v6, v7, v6, s[4:5]
	v_cndmask_b32_e32 v7, v16, v12, vcc
	v_cndmask_b32_e64 v9, v9, v7, s[4:5]
	v_cndmask_b32_e64 v6, v6, v11, s[6:7]
	;; [unrolled: 1-line block ×3, first 2 shown]
	v_sub_u32_e32 v13, 32, v5
	v_alignbit_b32 v15, v6, v11, v13
	v_cmp_eq_u32_e64 s[8:9], 0, v5
	v_cndmask_b32_e64 v5, v15, v6, s[8:9]
	v_cndmask_b32_e32 v6, v14, v10, vcc
	v_cndmask_b32_e64 v7, v7, v6, s[4:5]
	v_cndmask_b32_e64 v9, v9, v7, s[6:7]
	v_alignbit_b32 v10, v11, v9, v13
	v_cndmask_b32_e32 v8, v12, v8, vcc
	v_cndmask_b32_e64 v10, v10, v11, s[8:9]
	v_bfe_u32 v15, v5, 29, 1
	v_cndmask_b32_e64 v6, v6, v8, s[4:5]
	v_alignbit_b32 v11, v5, v10, 30
	v_sub_u32_e32 v16, 0, v15
	v_cndmask_b32_e64 v6, v7, v6, s[6:7]
	v_xor_b32_e32 v17, v11, v16
	v_alignbit_b32 v7, v9, v6, v13
	v_cndmask_b32_e64 v7, v7, v9, s[8:9]
	v_ffbh_u32_e32 v9, v17
	v_add_u32_e32 v9, 1, v9
	v_cmp_ne_u32_e32 vcc, v11, v16
	v_alignbit_b32 v8, v10, v7, 30
	v_cndmask_b32_e32 v9, 33, v9, vcc
	v_alignbit_b32 v6, v7, v6, 30
	v_xor_b32_e32 v8, v8, v16
	v_sub_u32_e32 v10, 32, v9
	v_xor_b32_e32 v6, v6, v16
	v_alignbit_b32 v11, v17, v8, v10
	v_alignbit_b32 v6, v8, v6, v10
	v_alignbit_b32 v7, v11, v6, 9
	v_ffbh_u32_e32 v8, v7
	v_min_u32_e32 v8, 32, v8
	v_lshrrev_b32_e32 v14, 29, v5
	v_sub_u32_e32 v10, 31, v8
	v_alignbit_b32 v6, v7, v6, v10
	v_lshlrev_b32_e32 v7, 31, v14
	v_or_b32_e32 v10, 0x33800000, v7
	v_add_lshl_u32 v8, v8, v9, 23
	v_lshrrev_b32_e32 v6, 9, v6
	v_sub_u32_e32 v8, v10, v8
	v_or_b32_e32 v6, v8, v6
	v_alignbit_b32 v8, v9, v11, 9
	v_or_b32_e32 v7, v8, v7
	v_xor_b32_e32 v7, 1.0, v7
	s_mov_b32 s4, 0x3fc90fda
	v_mul_f32_e32 v8, 0x3fc90fda, v7
	v_fma_f32 v9, v7, s4, -v8
	v_fmac_f32_e32 v9, 0x33a22168, v7
	v_fmac_f32_e32 v9, 0x3fc90fda, v6
	v_lshrrev_b32_e32 v5, 30, v5
	v_add_f32_e32 v6, v8, v9
	v_add_u32_e32 v5, v15, v5
	s_andn2_saveexec_b64 s[4:5], s[14:15]
	s_cbranch_execnz .LBB9_11
	s_branch .LBB9_12
.LBB9_10:
	s_andn2_saveexec_b64 s[4:5], s[14:15]
.LBB9_11:
	s_mov_b32 s6, 0x3f22f983
	v_mul_f32_e64 v5, |v1|, s6
	v_rndne_f32_e32 v7, v5
	s_mov_b32 s6, 0xbfc90fda
	v_cvt_i32_f32_e32 v5, v7
	v_fma_f32 v6, v7, s6, |v1|
	v_fmac_f32_e32 v6, 0xb3a22168, v7
	v_fmac_f32_e32 v6, 0xa7c234c4, v7
.LBB9_12:
	s_or_b64 exec, exec, s[4:5]
	s_mov_b32 s6, 0x40a00000
	v_div_scale_f32 v7, s[4:5], v0, v0, s6
	v_rcp_f32_e32 v8, v7
	v_div_scale_f32 v9, vcc, s6, v0, s6
	v_mov_b32_e32 v12, 0x409f6dae
	v_fma_f32 v10, -v7, v8, 1.0
	v_fmac_f32_e32 v8, v10, v8
	v_mul_f32_e32 v10, v9, v8
	v_fma_f32 v11, -v7, v10, v9
	v_fmac_f32_e32 v10, v11, v8
	v_fma_f32 v7, -v7, v10, v9
	v_div_fmas_f32 v7, v7, v8, v10
	v_div_fixup_f32 v7, v7, v0, s6
	v_mul_f32_e32 v8, v7, v7
	v_mov_b32_e32 v9, 0x3a47c962
	v_fmac_f32_e32 v9, 0, v8
	v_mov_b32_e32 v10, 0x3d95ca45
	v_fmac_f32_e32 v10, v8, v9
	;; [unrolled: 2-line block ×12, first 2 shown]
	v_fma_f32 v9, v8, v11, 1.0
	v_mov_b32_e32 v11, 0x3d513fd3
	v_fmac_f32_e32 v11, 0, v8
	v_fmac_f32_e32 v12, v8, v11
	v_mov_b32_e32 v11, 0x4297a5cd
	v_fmac_f32_e32 v11, v8, v12
	v_mov_b32_e32 v12, 0x43b763ca
	;; [unrolled: 2-line block ×8, first 2 shown]
	v_fma_f32 v10, v8, v10, 1.0
	v_fmac_f32_e32 v13, v8, v11
	v_mov_b32_e32 v11, 0x459bd349
	v_div_scale_f32 v14, s[4:5], v9, v9, v10
	v_fmac_f32_e32 v11, v8, v13
	v_mov_b32_e32 v13, 0x46156947
	v_rcp_f32_e32 v15, v14
	v_fmac_f32_e32 v13, v8, v11
	v_mov_b32_e32 v11, 0x45f9e855
	v_fmac_f32_e32 v11, v8, v13
	v_mov_b32_e32 v13, 0x4530a316
	;; [unrolled: 2-line block ×3, first 2 shown]
	v_fmac_f32_e32 v11, v8, v13
	v_fma_f32 v8, -v14, v15, 1.0
	v_fmac_f32_e32 v15, v8, v15
	v_div_scale_f32 v8, vcc, v10, v9, v10
	v_mul_f32_e32 v13, v8, v15
	v_fma_f32 v16, -v14, v13, v8
	v_fmac_f32_e32 v13, v16, v15
	v_fma_f32 v8, -v14, v13, v8
	v_div_fmas_f32 v8, v8, v15, v13
	v_div_fixup_f32 v8, v8, v9, v10
	v_mul_f32_e32 v9, v4, v4
	v_mov_b32_e32 v15, 0xbab64f3b
	v_mov_b32_e32 v13, 0x3c0881c4
	v_fmac_f32_e32 v15, 0x37d75334, v9
	v_mov_b32_e32 v16, 0x3d2aabf7
	v_fmac_f32_e32 v13, 0xb94c1982, v9
	v_mov_b32_e32 v14, 0xbe2aaa9d
	v_fma_f32 v15, v9, v15, v16
	v_mov_b32_e32 v17, 0xbf000004
	v_fma_f32 v13, v9, v13, v14
	v_fma_f32 v15, v9, v15, v17
	v_mul_f32_e32 v13, v9, v13
	v_fma_f32 v9, v9, v15, 1.0
	v_and_b32_e32 v15, 1, v3
	v_fmac_f32_e32 v4, v4, v13
	v_cmp_eq_u32_e32 vcc, 0, v15
	v_lshlrev_b32_e32 v3, 30, v3
	v_cndmask_b32_e64 v4, -v4, v9, vcc
	v_and_b32_e32 v3, 0x80000000, v3
	v_xor_b32_e32 v3, v3, v4
	v_div_scale_f32 v4, s[4:5], v11, v11, v12
	v_rcp_f32_e32 v9, v4
	v_mov_b32_e32 v10, 0x3c0881c4
	v_mov_b32_e32 v13, 0xbab64f3b
	s_movk_i32 s6, 0x1f8
	v_fma_f32 v18, -v4, v9, 1.0
	v_fmac_f32_e32 v9, v18, v9
	v_div_scale_f32 v18, vcc, v12, v11, v12
	v_mul_f32_e32 v19, v18, v9
	v_fma_f32 v20, -v4, v19, v18
	v_fmac_f32_e32 v19, v20, v9
	v_fma_f32 v4, -v4, v19, v18
	v_div_fmas_f32 v4, v4, v9, v19
	v_div_fixup_f32 v4, v4, v11, v12
	v_mul_f32_e32 v4, v7, v4
	v_mul_f32_e32 v7, v6, v6
	v_fmac_f32_e32 v10, 0xb94c1982, v7
	v_fmac_f32_e32 v14, v7, v10
	;; [unrolled: 1-line block ×3, first 2 shown]
	v_mul_f32_e32 v9, v7, v14
	v_fmac_f32_e32 v16, v7, v13
	v_fmac_f32_e32 v6, v6, v9
	;; [unrolled: 1-line block ×3, first 2 shown]
	v_and_b32_e32 v9, 1, v5
	v_lshlrev_b32_e32 v5, 30, v5
	v_cmp_class_f32_e64 s[4:5], v1, s6
	v_fma_f32 v7, v7, v17, 1.0
	v_cmp_eq_u32_e32 vcc, 0, v9
	v_and_b32_e32 v5, 0x80000000, v5
	v_xor_b32_e32 v1, v2, v1
	v_cndmask_b32_e32 v6, v7, v6, vcc
	v_xor_b32_e32 v1, v1, v5
	v_mov_b32_e32 v15, 0x7fc00000
	v_xor_b32_e32 v1, v1, v6
	v_cndmask_b32_e64 v3, v15, v3, s[4:5]
	v_cndmask_b32_e64 v1, v15, v1, s[4:5]
	s_mov_b32 s4, 0xf800000
	v_mul_f32_e32 v2, 0x4f800000, v0
	v_cmp_gt_f32_e32 vcc, s4, v0
	v_cndmask_b32_e32 v0, v0, v2, vcc
	v_sqrt_f32_e32 v2, v0
	v_mul_f32_e32 v1, v4, v1
	v_fma_f32 v1, v8, v3, -v1
	v_mul_f32_e32 v1, 0x3f4c422a, v1
	v_add_u32_e32 v3, -1, v2
	v_fma_f32 v4, -v3, v2, v0
	v_cmp_ge_f32_e64 s[4:5], 0, v4
	v_add_u32_e32 v4, 1, v2
	v_cndmask_b32_e64 v3, v2, v3, s[4:5]
	v_fma_f32 v2, -v4, v2, v0
	v_cmp_lt_f32_e64 s[4:5], 0, v2
	v_cndmask_b32_e64 v2, v3, v4, s[4:5]
	v_mul_f32_e32 v3, 0x37800000, v2
	v_cndmask_b32_e32 v2, v2, v3, vcc
	v_mov_b32_e32 v3, 0x260
	v_cmp_class_f32_e32 vcc, v0, v3
	v_cndmask_b32_e32 v0, v2, v0, vcc
	v_div_scale_f32 v2, s[4:5], v0, v0, v1
	v_rcp_f32_e32 v3, v2
	v_fma_f32 v4, -v2, v3, 1.0
	v_fmac_f32_e32 v3, v4, v3
	v_div_scale_f32 v4, vcc, v1, v0, v1
	v_mul_f32_e32 v5, v4, v3
	v_fma_f32 v6, -v2, v5, v4
	v_fmac_f32_e32 v5, v6, v3
	v_fma_f32 v2, -v2, v5, v4
	v_div_fmas_f32 v2, v2, v3, v5
	v_div_fixup_f32 v1, v2, v0, v1
.LBB9_13:
	s_or_b64 exec, exec, s[12:13]
                                        ; implicit-def: $vgpr0
.LBB9_14:
	s_andn2_saveexec_b64 s[34:35], s[10:11]
	s_cbranch_execz .LBB9_16
; %bb.15:
	v_xor_b32_e32 v0, 0x80000000, v0
	s_getpc_b64 s[4:5]
	s_add_u32 s4, s4, _Z17bessel_j1_forwardIfET_S0_@rel32@lo+4
	s_addc_u32 s5, s5, _Z17bessel_j1_forwardIfET_S0_@rel32@hi+12
	s_swappc_b64 s[30:31], s[4:5]
	v_xor_b32_e32 v1, 0x80000000, v0
.LBB9_16:
	s_or_b64 exec, exec, s[34:35]
	v_readlane_b32 s30, v40, 2
	v_mov_b32_e32 v0, v1
	v_readlane_b32 s31, v40, 3
	v_readlane_b32 s35, v40, 1
	;; [unrolled: 1-line block ×4, first 2 shown]
	s_or_saveexec_b64 s[6:7], -1
	buffer_load_dword v40, off, s[0:3], s33 ; 4-byte Folded Reload
	s_mov_b64 exec, s[6:7]
	s_addk_i32 s32, 0xfc00
	s_mov_b32 s33, s4
	s_waitcnt vmcnt(0)
	s_setpc_b64 s[30:31]
.Lfunc_end9:
	.size	_Z17bessel_j1_forwardIfET_S0_, .Lfunc_end9-_Z17bessel_j1_forwardIfET_S0_
                                        ; -- End function
	.section	.AMDGPU.csdata,"",@progbits
; Function info:
; codeLenInByte = 2956
; NumSgprs: 40
; NumVgprs: 41
; NumAgprs: 0
; TotalNumVgprs: 41
; ScratchSize: 16
; MemoryBound: 0
	.section	.text._ZN2at6native29vectorized_elementwise_kernelILi16EZZZNS0_12_GLOBAL__N_121bessel_j1_kernel_cudaERNS_18TensorIteratorBaseEENKUlvE_clEvENKUlvE0_clEvEUlfE_St5arrayIPcLm2EEEEviT0_T1_,"axG",@progbits,_ZN2at6native29vectorized_elementwise_kernelILi16EZZZNS0_12_GLOBAL__N_121bessel_j1_kernel_cudaERNS_18TensorIteratorBaseEENKUlvE_clEvENKUlvE0_clEvEUlfE_St5arrayIPcLm2EEEEviT0_T1_,comdat
	.globl	_ZN2at6native29vectorized_elementwise_kernelILi16EZZZNS0_12_GLOBAL__N_121bessel_j1_kernel_cudaERNS_18TensorIteratorBaseEENKUlvE_clEvENKUlvE0_clEvEUlfE_St5arrayIPcLm2EEEEviT0_T1_ ; -- Begin function _ZN2at6native29vectorized_elementwise_kernelILi16EZZZNS0_12_GLOBAL__N_121bessel_j1_kernel_cudaERNS_18TensorIteratorBaseEENKUlvE_clEvENKUlvE0_clEvEUlfE_St5arrayIPcLm2EEEEviT0_T1_
	.p2align	8
	.type	_ZN2at6native29vectorized_elementwise_kernelILi16EZZZNS0_12_GLOBAL__N_121bessel_j1_kernel_cudaERNS_18TensorIteratorBaseEENKUlvE_clEvENKUlvE0_clEvEUlfE_St5arrayIPcLm2EEEEviT0_T1_,@function
_ZN2at6native29vectorized_elementwise_kernelILi16EZZZNS0_12_GLOBAL__N_121bessel_j1_kernel_cudaERNS_18TensorIteratorBaseEENKUlvE_clEvENKUlvE0_clEvEUlfE_St5arrayIPcLm2EEEEviT0_T1_: ; @_ZN2at6native29vectorized_elementwise_kernelILi16EZZZNS0_12_GLOBAL__N_121bessel_j1_kernel_cudaERNS_18TensorIteratorBaseEENKUlvE_clEvENKUlvE0_clEvEUlfE_St5arrayIPcLm2EEEEviT0_T1_
; %bb.0:
	s_add_u32 flat_scratch_lo, s6, s9
	s_load_dword s6, s[4:5], 0x0
	s_load_dwordx4 s[40:43], s[4:5], 0x8
	s_addc_u32 flat_scratch_hi, s7, 0
	s_add_u32 s0, s0, s9
	s_addc_u32 s1, s1, 0
	s_lshl_b32 s38, s8, 10
	s_waitcnt lgkmcnt(0)
	s_sub_i32 s44, s6, s38
	v_mov_b32_e32 v41, v0
	s_cmpk_gt_i32 s44, 0x3ff
	s_mov_b64 s[4:5], -1
	s_mov_b32 s32, 0
	s_cbranch_scc0 .LBB10_2
; %bb.1:
	s_ashr_i32 s39, s38, 31
	s_lshl_b64 s[36:37], s[38:39], 2
	s_add_u32 s4, s42, s36
	s_addc_u32 s5, s43, s37
	v_lshlrev_b32_e32 v46, 4, v41
	global_load_dwordx4 v[42:45], v46, s[4:5]
	s_getpc_b64 s[46:47]
	s_add_u32 s46, s46, _Z17bessel_j1_forwardIfET_S0_@rel32@lo+4
	s_addc_u32 s47, s47, _Z17bessel_j1_forwardIfET_S0_@rel32@hi+12
	s_waitcnt vmcnt(0)
	v_mov_b32_e32 v0, v42
	s_swappc_b64 s[30:31], s[46:47]
	v_mov_b32_e32 v42, v0
	v_mov_b32_e32 v0, v43
	s_swappc_b64 s[30:31], s[46:47]
	v_mov_b32_e32 v43, v0
	;; [unrolled: 3-line block ×3, first 2 shown]
	v_mov_b32_e32 v0, v45
	s_swappc_b64 s[30:31], s[46:47]
	s_add_u32 s4, s40, s36
	v_mov_b32_e32 v45, v0
	s_addc_u32 s5, s41, s37
	global_store_dwordx4 v46, v[42:45], s[4:5]
	s_mov_b64 s[4:5], 0
.LBB10_2:
	s_andn2_b64 vcc, exec, s[4:5]
	s_cbranch_vccnz .LBB10_21
; %bb.3:
	v_cmp_gt_i32_e64 s[36:37], s44, v41
	v_mov_b32_e32 v46, 0
	v_or_b32_e32 v58, s38, v41
	v_mov_b32_e32 v0, 0
	v_mov_b32_e32 v1, v41
	s_and_saveexec_b64 s[4:5], s[36:37]
	s_cbranch_execz .LBB10_5
; %bb.4:
	v_mov_b32_e32 v59, 0
	v_lshlrev_b64 v[0:1], 2, v[58:59]
	v_mov_b32_e32 v2, s43
	v_add_co_u32_e32 v0, vcc, s42, v0
	v_addc_co_u32_e32 v1, vcc, v2, v1, vcc
	global_load_dword v0, v[0:1], off
	v_or_b32_e32 v1, 0x100, v41
.LBB10_5:
	s_or_b64 exec, exec, s[4:5]
	v_cmp_gt_i32_e32 vcc, s44, v1
	s_and_saveexec_b64 s[4:5], vcc
	s_cbranch_execz .LBB10_7
; %bb.6:
	v_add_u32_e32 v2, s38, v1
	v_mov_b32_e32 v3, 0
	v_lshlrev_b64 v[2:3], 2, v[2:3]
	v_mov_b32_e32 v4, s43
	v_add_co_u32_e32 v2, vcc, s42, v2
	v_addc_co_u32_e32 v3, vcc, v4, v3, vcc
	global_load_dword v46, v[2:3], off
	v_add_u32_e32 v1, 0x100, v1
.LBB10_7:
	s_or_b64 exec, exec, s[4:5]
	v_cmp_gt_i32_e32 vcc, s44, v1
	v_mov_b32_e32 v47, 0
	v_mov_b32_e32 v56, 0
	s_and_saveexec_b64 s[4:5], vcc
	s_cbranch_execnz .LBB10_22
; %bb.8:
	s_or_b64 exec, exec, s[4:5]
	v_cmp_gt_i32_e32 vcc, s44, v1
	s_and_saveexec_b64 s[4:5], vcc
	s_cbranch_execnz .LBB10_23
.LBB10_9:
	s_or_b64 exec, exec, s[4:5]
                                        ; implicit-def: $vgpr42_vgpr43_vgpr44_vgpr45
	s_and_saveexec_b64 s[42:43], s[36:37]
	s_cbranch_execz .LBB10_11
.LBB10_10:
	s_getpc_b64 s[4:5]
	s_add_u32 s4, s4, _Z17bessel_j1_forwardIfET_S0_@rel32@lo+4
	s_addc_u32 s5, s5, _Z17bessel_j1_forwardIfET_S0_@rel32@hi+12
	s_swappc_b64 s[30:31], s[4:5]
	v_mov_b32_e32 v42, v0
.LBB10_11:
	s_or_b64 exec, exec, s[42:43]
	v_or_b32_e32 v57, 0x100, v41
	v_cmp_gt_i32_e32 vcc, s44, v57
	s_and_saveexec_b64 s[42:43], vcc
	s_cbranch_execz .LBB10_13
; %bb.12:
	s_waitcnt vmcnt(0)
	v_mov_b32_e32 v0, v46
	s_getpc_b64 s[4:5]
	s_add_u32 s4, s4, _Z17bessel_j1_forwardIfET_S0_@rel32@lo+4
	s_addc_u32 s5, s5, _Z17bessel_j1_forwardIfET_S0_@rel32@hi+12
	s_swappc_b64 s[30:31], s[4:5]
	v_mov_b32_e32 v43, v0
.LBB10_13:
	s_or_b64 exec, exec, s[42:43]
	s_waitcnt vmcnt(0)
	v_or_b32_e32 v0, 0x200, v41
	v_cmp_gt_i32_e32 vcc, s44, v0
	s_and_saveexec_b64 s[42:43], vcc
	s_cbranch_execz .LBB10_15
; %bb.14:
	v_mov_b32_e32 v0, v56
	s_getpc_b64 s[4:5]
	s_add_u32 s4, s4, _Z17bessel_j1_forwardIfET_S0_@rel32@lo+4
	s_addc_u32 s5, s5, _Z17bessel_j1_forwardIfET_S0_@rel32@hi+12
	s_swappc_b64 s[30:31], s[4:5]
	v_mov_b32_e32 v44, v0
.LBB10_15:
	s_or_b64 exec, exec, s[42:43]
	v_or_b32_e32 v0, 0x300, v41
	v_cmp_gt_i32_e32 vcc, s44, v0
	s_and_saveexec_b64 s[42:43], vcc
	s_cbranch_execnz .LBB10_24
; %bb.16:
	s_or_b64 exec, exec, s[42:43]
	s_and_saveexec_b64 s[4:5], s[36:37]
	s_xor_b64 s[4:5], exec, s[4:5]
	s_cbranch_execnz .LBB10_25
.LBB10_17:
	s_or_b64 exec, exec, s[4:5]
	v_cmp_gt_i32_e32 vcc, s44, v41
	s_and_saveexec_b64 s[4:5], vcc
	s_cbranch_execnz .LBB10_26
.LBB10_18:
	s_or_b64 exec, exec, s[4:5]
	v_cmp_gt_i32_e32 vcc, s44, v41
	s_and_saveexec_b64 s[4:5], vcc
	s_cbranch_execnz .LBB10_27
.LBB10_19:
	s_or_b64 exec, exec, s[4:5]
	v_cmp_gt_i32_e32 vcc, s44, v41
	s_and_saveexec_b64 s[4:5], vcc
	s_cbranch_execz .LBB10_21
.LBB10_20:
	v_add_u32_e32 v0, s38, v41
	v_mov_b32_e32 v1, 0
	v_lshlrev_b64 v[0:1], 2, v[0:1]
	v_mov_b32_e32 v2, s41
	v_add_co_u32_e32 v0, vcc, s40, v0
	v_addc_co_u32_e32 v1, vcc, v2, v1, vcc
	global_store_dword v[0:1], v45, off
.LBB10_21:
	s_endpgm
.LBB10_22:
	v_add_u32_e32 v2, s38, v1
	v_mov_b32_e32 v3, 0
	v_lshlrev_b64 v[2:3], 2, v[2:3]
	v_mov_b32_e32 v4, s43
	v_add_co_u32_e32 v2, vcc, s42, v2
	v_addc_co_u32_e32 v3, vcc, v4, v3, vcc
	global_load_dword v56, v[2:3], off
	v_add_u32_e32 v1, 0x100, v1
	s_or_b64 exec, exec, s[4:5]
	v_cmp_gt_i32_e32 vcc, s44, v1
	s_and_saveexec_b64 s[4:5], vcc
	s_cbranch_execz .LBB10_9
.LBB10_23:
	v_add_u32_e32 v2, s38, v1
	v_mov_b32_e32 v3, 0
	v_lshlrev_b64 v[2:3], 2, v[2:3]
	v_mov_b32_e32 v1, s43
	v_add_co_u32_e32 v2, vcc, s42, v2
	v_addc_co_u32_e32 v3, vcc, v1, v3, vcc
	global_load_dword v47, v[2:3], off
	s_or_b64 exec, exec, s[4:5]
                                        ; implicit-def: $vgpr42_vgpr43_vgpr44_vgpr45
	s_and_saveexec_b64 s[42:43], s[36:37]
	s_cbranch_execnz .LBB10_10
	s_branch .LBB10_11
.LBB10_24:
	v_mov_b32_e32 v0, v47
	s_getpc_b64 s[4:5]
	s_add_u32 s4, s4, _Z17bessel_j1_forwardIfET_S0_@rel32@lo+4
	s_addc_u32 s5, s5, _Z17bessel_j1_forwardIfET_S0_@rel32@hi+12
	s_swappc_b64 s[30:31], s[4:5]
	v_mov_b32_e32 v45, v0
	s_or_b64 exec, exec, s[42:43]
	s_and_saveexec_b64 s[4:5], s[36:37]
	s_xor_b64 s[4:5], exec, s[4:5]
	s_cbranch_execz .LBB10_17
.LBB10_25:
	v_mov_b32_e32 v59, 0
	v_lshlrev_b64 v[0:1], 2, v[58:59]
	v_mov_b32_e32 v2, s41
	v_add_co_u32_e32 v0, vcc, s40, v0
	v_addc_co_u32_e32 v1, vcc, v2, v1, vcc
	v_mov_b32_e32 v41, v57
	global_store_dword v[0:1], v42, off
	s_or_b64 exec, exec, s[4:5]
	v_cmp_gt_i32_e32 vcc, s44, v41
	s_and_saveexec_b64 s[4:5], vcc
	s_cbranch_execz .LBB10_18
.LBB10_26:
	v_add_u32_e32 v0, s38, v41
	v_mov_b32_e32 v1, 0
	v_lshlrev_b64 v[0:1], 2, v[0:1]
	v_mov_b32_e32 v2, s41
	v_add_co_u32_e32 v0, vcc, s40, v0
	v_addc_co_u32_e32 v1, vcc, v2, v1, vcc
	v_add_u32_e32 v41, 0x100, v41
	global_store_dword v[0:1], v43, off
	s_or_b64 exec, exec, s[4:5]
	v_cmp_gt_i32_e32 vcc, s44, v41
	s_and_saveexec_b64 s[4:5], vcc
	s_cbranch_execz .LBB10_19
.LBB10_27:
	v_add_u32_e32 v0, s38, v41
	v_mov_b32_e32 v1, 0
	v_lshlrev_b64 v[0:1], 2, v[0:1]
	v_mov_b32_e32 v2, s41
	v_add_co_u32_e32 v0, vcc, s40, v0
	v_addc_co_u32_e32 v1, vcc, v2, v1, vcc
	v_add_u32_e32 v41, 0x100, v41
	global_store_dword v[0:1], v44, off
	s_or_b64 exec, exec, s[4:5]
	v_cmp_gt_i32_e32 vcc, s44, v41
	s_and_saveexec_b64 s[4:5], vcc
	s_cbranch_execnz .LBB10_20
	s_branch .LBB10_21
	.section	.rodata,"a",@progbits
	.p2align	6, 0x0
	.amdhsa_kernel _ZN2at6native29vectorized_elementwise_kernelILi16EZZZNS0_12_GLOBAL__N_121bessel_j1_kernel_cudaERNS_18TensorIteratorBaseEENKUlvE_clEvENKUlvE0_clEvEUlfE_St5arrayIPcLm2EEEEviT0_T1_
		.amdhsa_group_segment_fixed_size 0
		.amdhsa_private_segment_fixed_size 16
		.amdhsa_kernarg_size 24
		.amdhsa_user_sgpr_count 8
		.amdhsa_user_sgpr_private_segment_buffer 1
		.amdhsa_user_sgpr_dispatch_ptr 0
		.amdhsa_user_sgpr_queue_ptr 0
		.amdhsa_user_sgpr_kernarg_segment_ptr 1
		.amdhsa_user_sgpr_dispatch_id 0
		.amdhsa_user_sgpr_flat_scratch_init 1
		.amdhsa_user_sgpr_kernarg_preload_length 0
		.amdhsa_user_sgpr_kernarg_preload_offset 0
		.amdhsa_user_sgpr_private_segment_size 0
		.amdhsa_uses_dynamic_stack 1
		.amdhsa_system_sgpr_private_segment_wavefront_offset 1
		.amdhsa_system_sgpr_workgroup_id_x 1
		.amdhsa_system_sgpr_workgroup_id_y 0
		.amdhsa_system_sgpr_workgroup_id_z 0
		.amdhsa_system_sgpr_workgroup_info 0
		.amdhsa_system_vgpr_workitem_id 0
		.amdhsa_next_free_vgpr 60
		.amdhsa_next_free_sgpr 48
		.amdhsa_accum_offset 60
		.amdhsa_reserve_vcc 1
		.amdhsa_reserve_flat_scratch 1
		.amdhsa_float_round_mode_32 0
		.amdhsa_float_round_mode_16_64 0
		.amdhsa_float_denorm_mode_32 3
		.amdhsa_float_denorm_mode_16_64 3
		.amdhsa_dx10_clamp 1
		.amdhsa_ieee_mode 1
		.amdhsa_fp16_overflow 0
		.amdhsa_tg_split 0
		.amdhsa_exception_fp_ieee_invalid_op 0
		.amdhsa_exception_fp_denorm_src 0
		.amdhsa_exception_fp_ieee_div_zero 0
		.amdhsa_exception_fp_ieee_overflow 0
		.amdhsa_exception_fp_ieee_underflow 0
		.amdhsa_exception_fp_ieee_inexact 0
		.amdhsa_exception_int_div_zero 0
	.end_amdhsa_kernel
	.section	.text._ZN2at6native29vectorized_elementwise_kernelILi16EZZZNS0_12_GLOBAL__N_121bessel_j1_kernel_cudaERNS_18TensorIteratorBaseEENKUlvE_clEvENKUlvE0_clEvEUlfE_St5arrayIPcLm2EEEEviT0_T1_,"axG",@progbits,_ZN2at6native29vectorized_elementwise_kernelILi16EZZZNS0_12_GLOBAL__N_121bessel_j1_kernel_cudaERNS_18TensorIteratorBaseEENKUlvE_clEvENKUlvE0_clEvEUlfE_St5arrayIPcLm2EEEEviT0_T1_,comdat
.Lfunc_end10:
	.size	_ZN2at6native29vectorized_elementwise_kernelILi16EZZZNS0_12_GLOBAL__N_121bessel_j1_kernel_cudaERNS_18TensorIteratorBaseEENKUlvE_clEvENKUlvE0_clEvEUlfE_St5arrayIPcLm2EEEEviT0_T1_, .Lfunc_end10-_ZN2at6native29vectorized_elementwise_kernelILi16EZZZNS0_12_GLOBAL__N_121bessel_j1_kernel_cudaERNS_18TensorIteratorBaseEENKUlvE_clEvENKUlvE0_clEvEUlfE_St5arrayIPcLm2EEEEviT0_T1_
                                        ; -- End function
	.section	.AMDGPU.csdata,"",@progbits
; Kernel info:
; codeLenInByte = 988
; NumSgprs: 54
; NumVgprs: 60
; NumAgprs: 0
; TotalNumVgprs: 60
; ScratchSize: 16
; MemoryBound: 0
; FloatMode: 240
; IeeeMode: 1
; LDSByteSize: 0 bytes/workgroup (compile time only)
; SGPRBlocks: 6
; VGPRBlocks: 7
; NumSGPRsForWavesPerEU: 54
; NumVGPRsForWavesPerEU: 60
; AccumOffset: 60
; Occupancy: 8
; WaveLimiterHint : 0
; COMPUTE_PGM_RSRC2:SCRATCH_EN: 1
; COMPUTE_PGM_RSRC2:USER_SGPR: 8
; COMPUTE_PGM_RSRC2:TRAP_HANDLER: 0
; COMPUTE_PGM_RSRC2:TGID_X_EN: 1
; COMPUTE_PGM_RSRC2:TGID_Y_EN: 0
; COMPUTE_PGM_RSRC2:TGID_Z_EN: 0
; COMPUTE_PGM_RSRC2:TIDIG_COMP_CNT: 0
; COMPUTE_PGM_RSRC3_GFX90A:ACCUM_OFFSET: 14
; COMPUTE_PGM_RSRC3_GFX90A:TG_SPLIT: 0
	.section	.text._ZN2at6native29vectorized_elementwise_kernelILi8EZZZNS0_12_GLOBAL__N_121bessel_j1_kernel_cudaERNS_18TensorIteratorBaseEENKUlvE_clEvENKUlvE0_clEvEUlfE_St5arrayIPcLm2EEEEviT0_T1_,"axG",@progbits,_ZN2at6native29vectorized_elementwise_kernelILi8EZZZNS0_12_GLOBAL__N_121bessel_j1_kernel_cudaERNS_18TensorIteratorBaseEENKUlvE_clEvENKUlvE0_clEvEUlfE_St5arrayIPcLm2EEEEviT0_T1_,comdat
	.globl	_ZN2at6native29vectorized_elementwise_kernelILi8EZZZNS0_12_GLOBAL__N_121bessel_j1_kernel_cudaERNS_18TensorIteratorBaseEENKUlvE_clEvENKUlvE0_clEvEUlfE_St5arrayIPcLm2EEEEviT0_T1_ ; -- Begin function _ZN2at6native29vectorized_elementwise_kernelILi8EZZZNS0_12_GLOBAL__N_121bessel_j1_kernel_cudaERNS_18TensorIteratorBaseEENKUlvE_clEvENKUlvE0_clEvEUlfE_St5arrayIPcLm2EEEEviT0_T1_
	.p2align	8
	.type	_ZN2at6native29vectorized_elementwise_kernelILi8EZZZNS0_12_GLOBAL__N_121bessel_j1_kernel_cudaERNS_18TensorIteratorBaseEENKUlvE_clEvENKUlvE0_clEvEUlfE_St5arrayIPcLm2EEEEviT0_T1_,@function
_ZN2at6native29vectorized_elementwise_kernelILi8EZZZNS0_12_GLOBAL__N_121bessel_j1_kernel_cudaERNS_18TensorIteratorBaseEENKUlvE_clEvENKUlvE0_clEvEUlfE_St5arrayIPcLm2EEEEviT0_T1_: ; @_ZN2at6native29vectorized_elementwise_kernelILi8EZZZNS0_12_GLOBAL__N_121bessel_j1_kernel_cudaERNS_18TensorIteratorBaseEENKUlvE_clEvENKUlvE0_clEvEUlfE_St5arrayIPcLm2EEEEviT0_T1_
; %bb.0:
	s_add_u32 flat_scratch_lo, s6, s9
	s_load_dword s6, s[4:5], 0x0
	s_load_dwordx4 s[40:43], s[4:5], 0x8
	s_addc_u32 flat_scratch_hi, s7, 0
	s_add_u32 s0, s0, s9
	s_addc_u32 s1, s1, 0
	s_lshl_b32 s38, s8, 10
	s_waitcnt lgkmcnt(0)
	s_sub_i32 s44, s6, s38
	v_mov_b32_e32 v41, v0
	s_cmpk_gt_i32 s44, 0x3ff
	s_mov_b64 s[4:5], -1
	s_mov_b32 s32, 0
	s_cbranch_scc0 .LBB11_2
; %bb.1:
	s_ashr_i32 s39, s38, 31
	s_lshl_b64 s[36:37], s[38:39], 2
	s_add_u32 s4, s42, s36
	s_addc_u32 s5, s43, s37
	v_lshlrev_b32_e32 v46, 4, v41
	global_load_dwordx4 v[42:45], v46, s[4:5]
	s_getpc_b64 s[46:47]
	s_add_u32 s46, s46, _Z17bessel_j1_forwardIfET_S0_@rel32@lo+4
	s_addc_u32 s47, s47, _Z17bessel_j1_forwardIfET_S0_@rel32@hi+12
	s_waitcnt vmcnt(0)
	v_mov_b32_e32 v0, v42
	s_swappc_b64 s[30:31], s[46:47]
	v_mov_b32_e32 v42, v0
	v_mov_b32_e32 v0, v43
	s_swappc_b64 s[30:31], s[46:47]
	v_mov_b32_e32 v43, v0
	;; [unrolled: 3-line block ×3, first 2 shown]
	v_mov_b32_e32 v0, v45
	s_swappc_b64 s[30:31], s[46:47]
	s_add_u32 s4, s40, s36
	v_mov_b32_e32 v45, v0
	s_addc_u32 s5, s41, s37
	global_store_dwordx4 v46, v[42:45], s[4:5]
	s_mov_b64 s[4:5], 0
.LBB11_2:
	s_andn2_b64 vcc, exec, s[4:5]
	s_cbranch_vccnz .LBB11_21
; %bb.3:
	v_cmp_gt_i32_e64 s[36:37], s44, v41
	v_mov_b32_e32 v46, 0
	v_or_b32_e32 v58, s38, v41
	v_mov_b32_e32 v0, 0
	v_mov_b32_e32 v1, v41
	s_and_saveexec_b64 s[4:5], s[36:37]
	s_cbranch_execz .LBB11_5
; %bb.4:
	v_mov_b32_e32 v59, 0
	v_lshlrev_b64 v[0:1], 2, v[58:59]
	v_mov_b32_e32 v2, s43
	v_add_co_u32_e32 v0, vcc, s42, v0
	v_addc_co_u32_e32 v1, vcc, v2, v1, vcc
	global_load_dword v0, v[0:1], off
	v_or_b32_e32 v1, 0x100, v41
.LBB11_5:
	s_or_b64 exec, exec, s[4:5]
	v_cmp_gt_i32_e32 vcc, s44, v1
	s_and_saveexec_b64 s[4:5], vcc
	s_cbranch_execz .LBB11_7
; %bb.6:
	v_add_u32_e32 v2, s38, v1
	v_mov_b32_e32 v3, 0
	v_lshlrev_b64 v[2:3], 2, v[2:3]
	v_mov_b32_e32 v4, s43
	v_add_co_u32_e32 v2, vcc, s42, v2
	v_addc_co_u32_e32 v3, vcc, v4, v3, vcc
	global_load_dword v46, v[2:3], off
	v_add_u32_e32 v1, 0x100, v1
.LBB11_7:
	s_or_b64 exec, exec, s[4:5]
	v_cmp_gt_i32_e32 vcc, s44, v1
	v_mov_b32_e32 v47, 0
	v_mov_b32_e32 v56, 0
	s_and_saveexec_b64 s[4:5], vcc
	s_cbranch_execnz .LBB11_22
; %bb.8:
	s_or_b64 exec, exec, s[4:5]
	v_cmp_gt_i32_e32 vcc, s44, v1
	s_and_saveexec_b64 s[4:5], vcc
	s_cbranch_execnz .LBB11_23
.LBB11_9:
	s_or_b64 exec, exec, s[4:5]
                                        ; implicit-def: $vgpr42_vgpr43_vgpr44_vgpr45
	s_and_saveexec_b64 s[42:43], s[36:37]
	s_cbranch_execz .LBB11_11
.LBB11_10:
	s_getpc_b64 s[4:5]
	s_add_u32 s4, s4, _Z17bessel_j1_forwardIfET_S0_@rel32@lo+4
	s_addc_u32 s5, s5, _Z17bessel_j1_forwardIfET_S0_@rel32@hi+12
	s_swappc_b64 s[30:31], s[4:5]
	v_mov_b32_e32 v42, v0
.LBB11_11:
	s_or_b64 exec, exec, s[42:43]
	v_or_b32_e32 v57, 0x100, v41
	v_cmp_gt_i32_e32 vcc, s44, v57
	s_and_saveexec_b64 s[42:43], vcc
	s_cbranch_execz .LBB11_13
; %bb.12:
	s_waitcnt vmcnt(0)
	v_mov_b32_e32 v0, v46
	s_getpc_b64 s[4:5]
	s_add_u32 s4, s4, _Z17bessel_j1_forwardIfET_S0_@rel32@lo+4
	s_addc_u32 s5, s5, _Z17bessel_j1_forwardIfET_S0_@rel32@hi+12
	s_swappc_b64 s[30:31], s[4:5]
	v_mov_b32_e32 v43, v0
.LBB11_13:
	s_or_b64 exec, exec, s[42:43]
	s_waitcnt vmcnt(0)
	v_or_b32_e32 v0, 0x200, v41
	v_cmp_gt_i32_e32 vcc, s44, v0
	s_and_saveexec_b64 s[42:43], vcc
	s_cbranch_execz .LBB11_15
; %bb.14:
	v_mov_b32_e32 v0, v56
	s_getpc_b64 s[4:5]
	s_add_u32 s4, s4, _Z17bessel_j1_forwardIfET_S0_@rel32@lo+4
	s_addc_u32 s5, s5, _Z17bessel_j1_forwardIfET_S0_@rel32@hi+12
	s_swappc_b64 s[30:31], s[4:5]
	v_mov_b32_e32 v44, v0
.LBB11_15:
	s_or_b64 exec, exec, s[42:43]
	v_or_b32_e32 v0, 0x300, v41
	v_cmp_gt_i32_e32 vcc, s44, v0
	s_and_saveexec_b64 s[42:43], vcc
	s_cbranch_execnz .LBB11_24
; %bb.16:
	s_or_b64 exec, exec, s[42:43]
	s_and_saveexec_b64 s[4:5], s[36:37]
	s_xor_b64 s[4:5], exec, s[4:5]
	s_cbranch_execnz .LBB11_25
.LBB11_17:
	s_or_b64 exec, exec, s[4:5]
	v_cmp_gt_i32_e32 vcc, s44, v41
	s_and_saveexec_b64 s[4:5], vcc
	s_cbranch_execnz .LBB11_26
.LBB11_18:
	s_or_b64 exec, exec, s[4:5]
	v_cmp_gt_i32_e32 vcc, s44, v41
	s_and_saveexec_b64 s[4:5], vcc
	s_cbranch_execnz .LBB11_27
.LBB11_19:
	s_or_b64 exec, exec, s[4:5]
	v_cmp_gt_i32_e32 vcc, s44, v41
	s_and_saveexec_b64 s[4:5], vcc
	s_cbranch_execz .LBB11_21
.LBB11_20:
	v_add_u32_e32 v0, s38, v41
	v_mov_b32_e32 v1, 0
	v_lshlrev_b64 v[0:1], 2, v[0:1]
	v_mov_b32_e32 v2, s41
	v_add_co_u32_e32 v0, vcc, s40, v0
	v_addc_co_u32_e32 v1, vcc, v2, v1, vcc
	global_store_dword v[0:1], v45, off
.LBB11_21:
	s_endpgm
.LBB11_22:
	v_add_u32_e32 v2, s38, v1
	v_mov_b32_e32 v3, 0
	v_lshlrev_b64 v[2:3], 2, v[2:3]
	v_mov_b32_e32 v4, s43
	v_add_co_u32_e32 v2, vcc, s42, v2
	v_addc_co_u32_e32 v3, vcc, v4, v3, vcc
	global_load_dword v56, v[2:3], off
	v_add_u32_e32 v1, 0x100, v1
	s_or_b64 exec, exec, s[4:5]
	v_cmp_gt_i32_e32 vcc, s44, v1
	s_and_saveexec_b64 s[4:5], vcc
	s_cbranch_execz .LBB11_9
.LBB11_23:
	v_add_u32_e32 v2, s38, v1
	v_mov_b32_e32 v3, 0
	v_lshlrev_b64 v[2:3], 2, v[2:3]
	v_mov_b32_e32 v1, s43
	v_add_co_u32_e32 v2, vcc, s42, v2
	v_addc_co_u32_e32 v3, vcc, v1, v3, vcc
	global_load_dword v47, v[2:3], off
	s_or_b64 exec, exec, s[4:5]
                                        ; implicit-def: $vgpr42_vgpr43_vgpr44_vgpr45
	s_and_saveexec_b64 s[42:43], s[36:37]
	s_cbranch_execnz .LBB11_10
	s_branch .LBB11_11
.LBB11_24:
	v_mov_b32_e32 v0, v47
	s_getpc_b64 s[4:5]
	s_add_u32 s4, s4, _Z17bessel_j1_forwardIfET_S0_@rel32@lo+4
	s_addc_u32 s5, s5, _Z17bessel_j1_forwardIfET_S0_@rel32@hi+12
	s_swappc_b64 s[30:31], s[4:5]
	v_mov_b32_e32 v45, v0
	s_or_b64 exec, exec, s[42:43]
	s_and_saveexec_b64 s[4:5], s[36:37]
	s_xor_b64 s[4:5], exec, s[4:5]
	s_cbranch_execz .LBB11_17
.LBB11_25:
	v_mov_b32_e32 v59, 0
	v_lshlrev_b64 v[0:1], 2, v[58:59]
	v_mov_b32_e32 v2, s41
	v_add_co_u32_e32 v0, vcc, s40, v0
	v_addc_co_u32_e32 v1, vcc, v2, v1, vcc
	v_mov_b32_e32 v41, v57
	global_store_dword v[0:1], v42, off
	s_or_b64 exec, exec, s[4:5]
	v_cmp_gt_i32_e32 vcc, s44, v41
	s_and_saveexec_b64 s[4:5], vcc
	s_cbranch_execz .LBB11_18
.LBB11_26:
	v_add_u32_e32 v0, s38, v41
	v_mov_b32_e32 v1, 0
	v_lshlrev_b64 v[0:1], 2, v[0:1]
	v_mov_b32_e32 v2, s41
	v_add_co_u32_e32 v0, vcc, s40, v0
	v_addc_co_u32_e32 v1, vcc, v2, v1, vcc
	v_add_u32_e32 v41, 0x100, v41
	global_store_dword v[0:1], v43, off
	s_or_b64 exec, exec, s[4:5]
	v_cmp_gt_i32_e32 vcc, s44, v41
	s_and_saveexec_b64 s[4:5], vcc
	s_cbranch_execz .LBB11_19
.LBB11_27:
	v_add_u32_e32 v0, s38, v41
	v_mov_b32_e32 v1, 0
	v_lshlrev_b64 v[0:1], 2, v[0:1]
	v_mov_b32_e32 v2, s41
	v_add_co_u32_e32 v0, vcc, s40, v0
	v_addc_co_u32_e32 v1, vcc, v2, v1, vcc
	v_add_u32_e32 v41, 0x100, v41
	global_store_dword v[0:1], v44, off
	s_or_b64 exec, exec, s[4:5]
	v_cmp_gt_i32_e32 vcc, s44, v41
	s_and_saveexec_b64 s[4:5], vcc
	s_cbranch_execnz .LBB11_20
	s_branch .LBB11_21
	.section	.rodata,"a",@progbits
	.p2align	6, 0x0
	.amdhsa_kernel _ZN2at6native29vectorized_elementwise_kernelILi8EZZZNS0_12_GLOBAL__N_121bessel_j1_kernel_cudaERNS_18TensorIteratorBaseEENKUlvE_clEvENKUlvE0_clEvEUlfE_St5arrayIPcLm2EEEEviT0_T1_
		.amdhsa_group_segment_fixed_size 0
		.amdhsa_private_segment_fixed_size 16
		.amdhsa_kernarg_size 24
		.amdhsa_user_sgpr_count 8
		.amdhsa_user_sgpr_private_segment_buffer 1
		.amdhsa_user_sgpr_dispatch_ptr 0
		.amdhsa_user_sgpr_queue_ptr 0
		.amdhsa_user_sgpr_kernarg_segment_ptr 1
		.amdhsa_user_sgpr_dispatch_id 0
		.amdhsa_user_sgpr_flat_scratch_init 1
		.amdhsa_user_sgpr_kernarg_preload_length 0
		.amdhsa_user_sgpr_kernarg_preload_offset 0
		.amdhsa_user_sgpr_private_segment_size 0
		.amdhsa_uses_dynamic_stack 1
		.amdhsa_system_sgpr_private_segment_wavefront_offset 1
		.amdhsa_system_sgpr_workgroup_id_x 1
		.amdhsa_system_sgpr_workgroup_id_y 0
		.amdhsa_system_sgpr_workgroup_id_z 0
		.amdhsa_system_sgpr_workgroup_info 0
		.amdhsa_system_vgpr_workitem_id 0
		.amdhsa_next_free_vgpr 60
		.amdhsa_next_free_sgpr 48
		.amdhsa_accum_offset 60
		.amdhsa_reserve_vcc 1
		.amdhsa_reserve_flat_scratch 1
		.amdhsa_float_round_mode_32 0
		.amdhsa_float_round_mode_16_64 0
		.amdhsa_float_denorm_mode_32 3
		.amdhsa_float_denorm_mode_16_64 3
		.amdhsa_dx10_clamp 1
		.amdhsa_ieee_mode 1
		.amdhsa_fp16_overflow 0
		.amdhsa_tg_split 0
		.amdhsa_exception_fp_ieee_invalid_op 0
		.amdhsa_exception_fp_denorm_src 0
		.amdhsa_exception_fp_ieee_div_zero 0
		.amdhsa_exception_fp_ieee_overflow 0
		.amdhsa_exception_fp_ieee_underflow 0
		.amdhsa_exception_fp_ieee_inexact 0
		.amdhsa_exception_int_div_zero 0
	.end_amdhsa_kernel
	.section	.text._ZN2at6native29vectorized_elementwise_kernelILi8EZZZNS0_12_GLOBAL__N_121bessel_j1_kernel_cudaERNS_18TensorIteratorBaseEENKUlvE_clEvENKUlvE0_clEvEUlfE_St5arrayIPcLm2EEEEviT0_T1_,"axG",@progbits,_ZN2at6native29vectorized_elementwise_kernelILi8EZZZNS0_12_GLOBAL__N_121bessel_j1_kernel_cudaERNS_18TensorIteratorBaseEENKUlvE_clEvENKUlvE0_clEvEUlfE_St5arrayIPcLm2EEEEviT0_T1_,comdat
.Lfunc_end11:
	.size	_ZN2at6native29vectorized_elementwise_kernelILi8EZZZNS0_12_GLOBAL__N_121bessel_j1_kernel_cudaERNS_18TensorIteratorBaseEENKUlvE_clEvENKUlvE0_clEvEUlfE_St5arrayIPcLm2EEEEviT0_T1_, .Lfunc_end11-_ZN2at6native29vectorized_elementwise_kernelILi8EZZZNS0_12_GLOBAL__N_121bessel_j1_kernel_cudaERNS_18TensorIteratorBaseEENKUlvE_clEvENKUlvE0_clEvEUlfE_St5arrayIPcLm2EEEEviT0_T1_
                                        ; -- End function
	.section	.AMDGPU.csdata,"",@progbits
; Kernel info:
; codeLenInByte = 988
; NumSgprs: 54
; NumVgprs: 60
; NumAgprs: 0
; TotalNumVgprs: 60
; ScratchSize: 16
; MemoryBound: 0
; FloatMode: 240
; IeeeMode: 1
; LDSByteSize: 0 bytes/workgroup (compile time only)
; SGPRBlocks: 6
; VGPRBlocks: 7
; NumSGPRsForWavesPerEU: 54
; NumVGPRsForWavesPerEU: 60
; AccumOffset: 60
; Occupancy: 8
; WaveLimiterHint : 0
; COMPUTE_PGM_RSRC2:SCRATCH_EN: 1
; COMPUTE_PGM_RSRC2:USER_SGPR: 8
; COMPUTE_PGM_RSRC2:TRAP_HANDLER: 0
; COMPUTE_PGM_RSRC2:TGID_X_EN: 1
; COMPUTE_PGM_RSRC2:TGID_Y_EN: 0
; COMPUTE_PGM_RSRC2:TGID_Z_EN: 0
; COMPUTE_PGM_RSRC2:TIDIG_COMP_CNT: 0
; COMPUTE_PGM_RSRC3_GFX90A:ACCUM_OFFSET: 14
; COMPUTE_PGM_RSRC3_GFX90A:TG_SPLIT: 0
	.section	.text._ZN2at6native29vectorized_elementwise_kernelILi4EZZZNS0_12_GLOBAL__N_121bessel_j1_kernel_cudaERNS_18TensorIteratorBaseEENKUlvE_clEvENKUlvE0_clEvEUlfE_St5arrayIPcLm2EEEEviT0_T1_,"axG",@progbits,_ZN2at6native29vectorized_elementwise_kernelILi4EZZZNS0_12_GLOBAL__N_121bessel_j1_kernel_cudaERNS_18TensorIteratorBaseEENKUlvE_clEvENKUlvE0_clEvEUlfE_St5arrayIPcLm2EEEEviT0_T1_,comdat
	.globl	_ZN2at6native29vectorized_elementwise_kernelILi4EZZZNS0_12_GLOBAL__N_121bessel_j1_kernel_cudaERNS_18TensorIteratorBaseEENKUlvE_clEvENKUlvE0_clEvEUlfE_St5arrayIPcLm2EEEEviT0_T1_ ; -- Begin function _ZN2at6native29vectorized_elementwise_kernelILi4EZZZNS0_12_GLOBAL__N_121bessel_j1_kernel_cudaERNS_18TensorIteratorBaseEENKUlvE_clEvENKUlvE0_clEvEUlfE_St5arrayIPcLm2EEEEviT0_T1_
	.p2align	8
	.type	_ZN2at6native29vectorized_elementwise_kernelILi4EZZZNS0_12_GLOBAL__N_121bessel_j1_kernel_cudaERNS_18TensorIteratorBaseEENKUlvE_clEvENKUlvE0_clEvEUlfE_St5arrayIPcLm2EEEEviT0_T1_,@function
_ZN2at6native29vectorized_elementwise_kernelILi4EZZZNS0_12_GLOBAL__N_121bessel_j1_kernel_cudaERNS_18TensorIteratorBaseEENKUlvE_clEvENKUlvE0_clEvEUlfE_St5arrayIPcLm2EEEEviT0_T1_: ; @_ZN2at6native29vectorized_elementwise_kernelILi4EZZZNS0_12_GLOBAL__N_121bessel_j1_kernel_cudaERNS_18TensorIteratorBaseEENKUlvE_clEvENKUlvE0_clEvEUlfE_St5arrayIPcLm2EEEEviT0_T1_
; %bb.0:
	s_add_u32 flat_scratch_lo, s6, s9
	s_load_dword s6, s[4:5], 0x0
	s_load_dwordx4 s[40:43], s[4:5], 0x8
	s_addc_u32 flat_scratch_hi, s7, 0
	s_add_u32 s0, s0, s9
	s_addc_u32 s1, s1, 0
	s_lshl_b32 s38, s8, 10
	s_waitcnt lgkmcnt(0)
	s_sub_i32 s44, s6, s38
	v_mov_b32_e32 v41, v0
	s_cmpk_gt_i32 s44, 0x3ff
	s_mov_b64 s[4:5], -1
	s_mov_b32 s32, 0
	s_cbranch_scc0 .LBB12_2
; %bb.1:
	s_ashr_i32 s39, s38, 31
	s_lshl_b64 s[36:37], s[38:39], 2
	s_add_u32 s4, s42, s36
	s_addc_u32 s5, s43, s37
	v_lshlrev_b32_e32 v46, 4, v41
	global_load_dwordx4 v[42:45], v46, s[4:5]
	s_getpc_b64 s[46:47]
	s_add_u32 s46, s46, _Z17bessel_j1_forwardIfET_S0_@rel32@lo+4
	s_addc_u32 s47, s47, _Z17bessel_j1_forwardIfET_S0_@rel32@hi+12
	s_waitcnt vmcnt(0)
	v_mov_b32_e32 v0, v42
	s_swappc_b64 s[30:31], s[46:47]
	v_mov_b32_e32 v42, v0
	v_mov_b32_e32 v0, v43
	s_swappc_b64 s[30:31], s[46:47]
	v_mov_b32_e32 v43, v0
	;; [unrolled: 3-line block ×3, first 2 shown]
	v_mov_b32_e32 v0, v45
	s_swappc_b64 s[30:31], s[46:47]
	s_add_u32 s4, s40, s36
	v_mov_b32_e32 v45, v0
	s_addc_u32 s5, s41, s37
	global_store_dwordx4 v46, v[42:45], s[4:5]
	s_mov_b64 s[4:5], 0
.LBB12_2:
	s_andn2_b64 vcc, exec, s[4:5]
	s_cbranch_vccnz .LBB12_21
; %bb.3:
	v_cmp_gt_i32_e64 s[36:37], s44, v41
	v_mov_b32_e32 v46, 0
	v_or_b32_e32 v58, s38, v41
	v_mov_b32_e32 v0, 0
	v_mov_b32_e32 v1, v41
	s_and_saveexec_b64 s[4:5], s[36:37]
	s_cbranch_execz .LBB12_5
; %bb.4:
	v_mov_b32_e32 v59, 0
	v_lshlrev_b64 v[0:1], 2, v[58:59]
	v_mov_b32_e32 v2, s43
	v_add_co_u32_e32 v0, vcc, s42, v0
	v_addc_co_u32_e32 v1, vcc, v2, v1, vcc
	global_load_dword v0, v[0:1], off
	v_or_b32_e32 v1, 0x100, v41
.LBB12_5:
	s_or_b64 exec, exec, s[4:5]
	v_cmp_gt_i32_e32 vcc, s44, v1
	s_and_saveexec_b64 s[4:5], vcc
	s_cbranch_execz .LBB12_7
; %bb.6:
	v_add_u32_e32 v2, s38, v1
	v_mov_b32_e32 v3, 0
	v_lshlrev_b64 v[2:3], 2, v[2:3]
	v_mov_b32_e32 v4, s43
	v_add_co_u32_e32 v2, vcc, s42, v2
	v_addc_co_u32_e32 v3, vcc, v4, v3, vcc
	global_load_dword v46, v[2:3], off
	v_add_u32_e32 v1, 0x100, v1
.LBB12_7:
	s_or_b64 exec, exec, s[4:5]
	v_cmp_gt_i32_e32 vcc, s44, v1
	v_mov_b32_e32 v47, 0
	v_mov_b32_e32 v56, 0
	s_and_saveexec_b64 s[4:5], vcc
	s_cbranch_execnz .LBB12_22
; %bb.8:
	s_or_b64 exec, exec, s[4:5]
	v_cmp_gt_i32_e32 vcc, s44, v1
	s_and_saveexec_b64 s[4:5], vcc
	s_cbranch_execnz .LBB12_23
.LBB12_9:
	s_or_b64 exec, exec, s[4:5]
                                        ; implicit-def: $vgpr42_vgpr43_vgpr44_vgpr45
	s_and_saveexec_b64 s[42:43], s[36:37]
	s_cbranch_execz .LBB12_11
.LBB12_10:
	s_getpc_b64 s[4:5]
	s_add_u32 s4, s4, _Z17bessel_j1_forwardIfET_S0_@rel32@lo+4
	s_addc_u32 s5, s5, _Z17bessel_j1_forwardIfET_S0_@rel32@hi+12
	s_swappc_b64 s[30:31], s[4:5]
	v_mov_b32_e32 v42, v0
.LBB12_11:
	s_or_b64 exec, exec, s[42:43]
	v_or_b32_e32 v57, 0x100, v41
	v_cmp_gt_i32_e32 vcc, s44, v57
	s_and_saveexec_b64 s[42:43], vcc
	s_cbranch_execz .LBB12_13
; %bb.12:
	s_waitcnt vmcnt(0)
	v_mov_b32_e32 v0, v46
	s_getpc_b64 s[4:5]
	s_add_u32 s4, s4, _Z17bessel_j1_forwardIfET_S0_@rel32@lo+4
	s_addc_u32 s5, s5, _Z17bessel_j1_forwardIfET_S0_@rel32@hi+12
	s_swappc_b64 s[30:31], s[4:5]
	v_mov_b32_e32 v43, v0
.LBB12_13:
	s_or_b64 exec, exec, s[42:43]
	s_waitcnt vmcnt(0)
	v_or_b32_e32 v0, 0x200, v41
	v_cmp_gt_i32_e32 vcc, s44, v0
	s_and_saveexec_b64 s[42:43], vcc
	s_cbranch_execz .LBB12_15
; %bb.14:
	v_mov_b32_e32 v0, v56
	s_getpc_b64 s[4:5]
	s_add_u32 s4, s4, _Z17bessel_j1_forwardIfET_S0_@rel32@lo+4
	s_addc_u32 s5, s5, _Z17bessel_j1_forwardIfET_S0_@rel32@hi+12
	s_swappc_b64 s[30:31], s[4:5]
	v_mov_b32_e32 v44, v0
.LBB12_15:
	s_or_b64 exec, exec, s[42:43]
	v_or_b32_e32 v0, 0x300, v41
	v_cmp_gt_i32_e32 vcc, s44, v0
	s_and_saveexec_b64 s[42:43], vcc
	s_cbranch_execnz .LBB12_24
; %bb.16:
	s_or_b64 exec, exec, s[42:43]
	s_and_saveexec_b64 s[4:5], s[36:37]
	s_xor_b64 s[4:5], exec, s[4:5]
	s_cbranch_execnz .LBB12_25
.LBB12_17:
	s_or_b64 exec, exec, s[4:5]
	v_cmp_gt_i32_e32 vcc, s44, v41
	s_and_saveexec_b64 s[4:5], vcc
	s_cbranch_execnz .LBB12_26
.LBB12_18:
	s_or_b64 exec, exec, s[4:5]
	v_cmp_gt_i32_e32 vcc, s44, v41
	s_and_saveexec_b64 s[4:5], vcc
	s_cbranch_execnz .LBB12_27
.LBB12_19:
	s_or_b64 exec, exec, s[4:5]
	v_cmp_gt_i32_e32 vcc, s44, v41
	s_and_saveexec_b64 s[4:5], vcc
	s_cbranch_execz .LBB12_21
.LBB12_20:
	v_add_u32_e32 v0, s38, v41
	v_mov_b32_e32 v1, 0
	v_lshlrev_b64 v[0:1], 2, v[0:1]
	v_mov_b32_e32 v2, s41
	v_add_co_u32_e32 v0, vcc, s40, v0
	v_addc_co_u32_e32 v1, vcc, v2, v1, vcc
	global_store_dword v[0:1], v45, off
.LBB12_21:
	s_endpgm
.LBB12_22:
	v_add_u32_e32 v2, s38, v1
	v_mov_b32_e32 v3, 0
	v_lshlrev_b64 v[2:3], 2, v[2:3]
	v_mov_b32_e32 v4, s43
	v_add_co_u32_e32 v2, vcc, s42, v2
	v_addc_co_u32_e32 v3, vcc, v4, v3, vcc
	global_load_dword v56, v[2:3], off
	v_add_u32_e32 v1, 0x100, v1
	s_or_b64 exec, exec, s[4:5]
	v_cmp_gt_i32_e32 vcc, s44, v1
	s_and_saveexec_b64 s[4:5], vcc
	s_cbranch_execz .LBB12_9
.LBB12_23:
	v_add_u32_e32 v2, s38, v1
	v_mov_b32_e32 v3, 0
	v_lshlrev_b64 v[2:3], 2, v[2:3]
	v_mov_b32_e32 v1, s43
	v_add_co_u32_e32 v2, vcc, s42, v2
	v_addc_co_u32_e32 v3, vcc, v1, v3, vcc
	global_load_dword v47, v[2:3], off
	s_or_b64 exec, exec, s[4:5]
                                        ; implicit-def: $vgpr42_vgpr43_vgpr44_vgpr45
	s_and_saveexec_b64 s[42:43], s[36:37]
	s_cbranch_execnz .LBB12_10
	s_branch .LBB12_11
.LBB12_24:
	v_mov_b32_e32 v0, v47
	s_getpc_b64 s[4:5]
	s_add_u32 s4, s4, _Z17bessel_j1_forwardIfET_S0_@rel32@lo+4
	s_addc_u32 s5, s5, _Z17bessel_j1_forwardIfET_S0_@rel32@hi+12
	s_swappc_b64 s[30:31], s[4:5]
	v_mov_b32_e32 v45, v0
	s_or_b64 exec, exec, s[42:43]
	s_and_saveexec_b64 s[4:5], s[36:37]
	s_xor_b64 s[4:5], exec, s[4:5]
	s_cbranch_execz .LBB12_17
.LBB12_25:
	v_mov_b32_e32 v59, 0
	v_lshlrev_b64 v[0:1], 2, v[58:59]
	v_mov_b32_e32 v2, s41
	v_add_co_u32_e32 v0, vcc, s40, v0
	v_addc_co_u32_e32 v1, vcc, v2, v1, vcc
	v_mov_b32_e32 v41, v57
	global_store_dword v[0:1], v42, off
	s_or_b64 exec, exec, s[4:5]
	v_cmp_gt_i32_e32 vcc, s44, v41
	s_and_saveexec_b64 s[4:5], vcc
	s_cbranch_execz .LBB12_18
.LBB12_26:
	v_add_u32_e32 v0, s38, v41
	v_mov_b32_e32 v1, 0
	v_lshlrev_b64 v[0:1], 2, v[0:1]
	v_mov_b32_e32 v2, s41
	v_add_co_u32_e32 v0, vcc, s40, v0
	v_addc_co_u32_e32 v1, vcc, v2, v1, vcc
	v_add_u32_e32 v41, 0x100, v41
	global_store_dword v[0:1], v43, off
	s_or_b64 exec, exec, s[4:5]
	v_cmp_gt_i32_e32 vcc, s44, v41
	s_and_saveexec_b64 s[4:5], vcc
	s_cbranch_execz .LBB12_19
.LBB12_27:
	v_add_u32_e32 v0, s38, v41
	v_mov_b32_e32 v1, 0
	v_lshlrev_b64 v[0:1], 2, v[0:1]
	v_mov_b32_e32 v2, s41
	v_add_co_u32_e32 v0, vcc, s40, v0
	v_addc_co_u32_e32 v1, vcc, v2, v1, vcc
	v_add_u32_e32 v41, 0x100, v41
	global_store_dword v[0:1], v44, off
	s_or_b64 exec, exec, s[4:5]
	v_cmp_gt_i32_e32 vcc, s44, v41
	s_and_saveexec_b64 s[4:5], vcc
	s_cbranch_execnz .LBB12_20
	s_branch .LBB12_21
	.section	.rodata,"a",@progbits
	.p2align	6, 0x0
	.amdhsa_kernel _ZN2at6native29vectorized_elementwise_kernelILi4EZZZNS0_12_GLOBAL__N_121bessel_j1_kernel_cudaERNS_18TensorIteratorBaseEENKUlvE_clEvENKUlvE0_clEvEUlfE_St5arrayIPcLm2EEEEviT0_T1_
		.amdhsa_group_segment_fixed_size 0
		.amdhsa_private_segment_fixed_size 16
		.amdhsa_kernarg_size 24
		.amdhsa_user_sgpr_count 8
		.amdhsa_user_sgpr_private_segment_buffer 1
		.amdhsa_user_sgpr_dispatch_ptr 0
		.amdhsa_user_sgpr_queue_ptr 0
		.amdhsa_user_sgpr_kernarg_segment_ptr 1
		.amdhsa_user_sgpr_dispatch_id 0
		.amdhsa_user_sgpr_flat_scratch_init 1
		.amdhsa_user_sgpr_kernarg_preload_length 0
		.amdhsa_user_sgpr_kernarg_preload_offset 0
		.amdhsa_user_sgpr_private_segment_size 0
		.amdhsa_uses_dynamic_stack 1
		.amdhsa_system_sgpr_private_segment_wavefront_offset 1
		.amdhsa_system_sgpr_workgroup_id_x 1
		.amdhsa_system_sgpr_workgroup_id_y 0
		.amdhsa_system_sgpr_workgroup_id_z 0
		.amdhsa_system_sgpr_workgroup_info 0
		.amdhsa_system_vgpr_workitem_id 0
		.amdhsa_next_free_vgpr 60
		.amdhsa_next_free_sgpr 48
		.amdhsa_accum_offset 60
		.amdhsa_reserve_vcc 1
		.amdhsa_reserve_flat_scratch 1
		.amdhsa_float_round_mode_32 0
		.amdhsa_float_round_mode_16_64 0
		.amdhsa_float_denorm_mode_32 3
		.amdhsa_float_denorm_mode_16_64 3
		.amdhsa_dx10_clamp 1
		.amdhsa_ieee_mode 1
		.amdhsa_fp16_overflow 0
		.amdhsa_tg_split 0
		.amdhsa_exception_fp_ieee_invalid_op 0
		.amdhsa_exception_fp_denorm_src 0
		.amdhsa_exception_fp_ieee_div_zero 0
		.amdhsa_exception_fp_ieee_overflow 0
		.amdhsa_exception_fp_ieee_underflow 0
		.amdhsa_exception_fp_ieee_inexact 0
		.amdhsa_exception_int_div_zero 0
	.end_amdhsa_kernel
	.section	.text._ZN2at6native29vectorized_elementwise_kernelILi4EZZZNS0_12_GLOBAL__N_121bessel_j1_kernel_cudaERNS_18TensorIteratorBaseEENKUlvE_clEvENKUlvE0_clEvEUlfE_St5arrayIPcLm2EEEEviT0_T1_,"axG",@progbits,_ZN2at6native29vectorized_elementwise_kernelILi4EZZZNS0_12_GLOBAL__N_121bessel_j1_kernel_cudaERNS_18TensorIteratorBaseEENKUlvE_clEvENKUlvE0_clEvEUlfE_St5arrayIPcLm2EEEEviT0_T1_,comdat
.Lfunc_end12:
	.size	_ZN2at6native29vectorized_elementwise_kernelILi4EZZZNS0_12_GLOBAL__N_121bessel_j1_kernel_cudaERNS_18TensorIteratorBaseEENKUlvE_clEvENKUlvE0_clEvEUlfE_St5arrayIPcLm2EEEEviT0_T1_, .Lfunc_end12-_ZN2at6native29vectorized_elementwise_kernelILi4EZZZNS0_12_GLOBAL__N_121bessel_j1_kernel_cudaERNS_18TensorIteratorBaseEENKUlvE_clEvENKUlvE0_clEvEUlfE_St5arrayIPcLm2EEEEviT0_T1_
                                        ; -- End function
	.section	.AMDGPU.csdata,"",@progbits
; Kernel info:
; codeLenInByte = 988
; NumSgprs: 54
; NumVgprs: 60
; NumAgprs: 0
; TotalNumVgprs: 60
; ScratchSize: 16
; MemoryBound: 0
; FloatMode: 240
; IeeeMode: 1
; LDSByteSize: 0 bytes/workgroup (compile time only)
; SGPRBlocks: 6
; VGPRBlocks: 7
; NumSGPRsForWavesPerEU: 54
; NumVGPRsForWavesPerEU: 60
; AccumOffset: 60
; Occupancy: 8
; WaveLimiterHint : 0
; COMPUTE_PGM_RSRC2:SCRATCH_EN: 1
; COMPUTE_PGM_RSRC2:USER_SGPR: 8
; COMPUTE_PGM_RSRC2:TRAP_HANDLER: 0
; COMPUTE_PGM_RSRC2:TGID_X_EN: 1
; COMPUTE_PGM_RSRC2:TGID_Y_EN: 0
; COMPUTE_PGM_RSRC2:TGID_Z_EN: 0
; COMPUTE_PGM_RSRC2:TIDIG_COMP_CNT: 0
; COMPUTE_PGM_RSRC3_GFX90A:ACCUM_OFFSET: 14
; COMPUTE_PGM_RSRC3_GFX90A:TG_SPLIT: 0
	.section	.text._ZN2at6native29vectorized_elementwise_kernelILi2EZZZNS0_12_GLOBAL__N_121bessel_j1_kernel_cudaERNS_18TensorIteratorBaseEENKUlvE_clEvENKUlvE0_clEvEUlfE_St5arrayIPcLm2EEEEviT0_T1_,"axG",@progbits,_ZN2at6native29vectorized_elementwise_kernelILi2EZZZNS0_12_GLOBAL__N_121bessel_j1_kernel_cudaERNS_18TensorIteratorBaseEENKUlvE_clEvENKUlvE0_clEvEUlfE_St5arrayIPcLm2EEEEviT0_T1_,comdat
	.globl	_ZN2at6native29vectorized_elementwise_kernelILi2EZZZNS0_12_GLOBAL__N_121bessel_j1_kernel_cudaERNS_18TensorIteratorBaseEENKUlvE_clEvENKUlvE0_clEvEUlfE_St5arrayIPcLm2EEEEviT0_T1_ ; -- Begin function _ZN2at6native29vectorized_elementwise_kernelILi2EZZZNS0_12_GLOBAL__N_121bessel_j1_kernel_cudaERNS_18TensorIteratorBaseEENKUlvE_clEvENKUlvE0_clEvEUlfE_St5arrayIPcLm2EEEEviT0_T1_
	.p2align	8
	.type	_ZN2at6native29vectorized_elementwise_kernelILi2EZZZNS0_12_GLOBAL__N_121bessel_j1_kernel_cudaERNS_18TensorIteratorBaseEENKUlvE_clEvENKUlvE0_clEvEUlfE_St5arrayIPcLm2EEEEviT0_T1_,@function
_ZN2at6native29vectorized_elementwise_kernelILi2EZZZNS0_12_GLOBAL__N_121bessel_j1_kernel_cudaERNS_18TensorIteratorBaseEENKUlvE_clEvENKUlvE0_clEvEUlfE_St5arrayIPcLm2EEEEviT0_T1_: ; @_ZN2at6native29vectorized_elementwise_kernelILi2EZZZNS0_12_GLOBAL__N_121bessel_j1_kernel_cudaERNS_18TensorIteratorBaseEENKUlvE_clEvENKUlvE0_clEvEUlfE_St5arrayIPcLm2EEEEviT0_T1_
; %bb.0:
	s_add_u32 flat_scratch_lo, s6, s9
	s_load_dword s6, s[4:5], 0x0
	s_load_dwordx4 s[40:43], s[4:5], 0x8
	s_addc_u32 flat_scratch_hi, s7, 0
	s_add_u32 s0, s0, s9
	s_addc_u32 s1, s1, 0
	s_lshl_b32 s38, s8, 10
	s_waitcnt lgkmcnt(0)
	s_sub_i32 s44, s6, s38
	v_mov_b32_e32 v41, v0
	s_cmpk_gt_i32 s44, 0x3ff
	s_mov_b64 s[4:5], -1
	s_mov_b32 s32, 0
	s_cbranch_scc0 .LBB13_2
; %bb.1:
	s_ashr_i32 s39, s38, 31
	s_lshl_b64 s[36:37], s[38:39], 2
	s_add_u32 s4, s42, s36
	s_addc_u32 s5, s43, s37
	v_lshlrev_b32_e32 v46, 3, v41
	global_load_dwordx2 v[42:43], v46, s[4:5]
	global_load_dwordx2 v[44:45], v46, s[4:5] offset:2048
	s_getpc_b64 s[46:47]
	s_add_u32 s46, s46, _Z17bessel_j1_forwardIfET_S0_@rel32@lo+4
	s_addc_u32 s47, s47, _Z17bessel_j1_forwardIfET_S0_@rel32@hi+12
	s_waitcnt vmcnt(1)
	v_mov_b32_e32 v0, v42
	s_swappc_b64 s[30:31], s[46:47]
	v_mov_b32_e32 v42, v0
	v_mov_b32_e32 v0, v43
	s_swappc_b64 s[30:31], s[46:47]
	v_mov_b32_e32 v43, v0
	;; [unrolled: 3-line block ×3, first 2 shown]
	v_mov_b32_e32 v0, v45
	s_swappc_b64 s[30:31], s[46:47]
	s_add_u32 s4, s40, s36
	s_addc_u32 s5, s41, s37
	v_mov_b32_e32 v45, v0
	global_store_dwordx2 v46, v[42:43], s[4:5]
	global_store_dwordx2 v46, v[44:45], s[4:5] offset:2048
	s_mov_b64 s[4:5], 0
.LBB13_2:
	s_andn2_b64 vcc, exec, s[4:5]
	s_cbranch_vccnz .LBB13_21
; %bb.3:
	v_cmp_gt_i32_e64 s[36:37], s44, v41
	v_mov_b32_e32 v46, 0
	v_or_b32_e32 v58, s38, v41
	v_mov_b32_e32 v0, 0
	v_mov_b32_e32 v1, v41
	s_and_saveexec_b64 s[4:5], s[36:37]
	s_cbranch_execz .LBB13_5
; %bb.4:
	v_mov_b32_e32 v59, 0
	v_lshlrev_b64 v[0:1], 2, v[58:59]
	v_mov_b32_e32 v2, s43
	v_add_co_u32_e32 v0, vcc, s42, v0
	v_addc_co_u32_e32 v1, vcc, v2, v1, vcc
	global_load_dword v0, v[0:1], off
	v_or_b32_e32 v1, 0x100, v41
.LBB13_5:
	s_or_b64 exec, exec, s[4:5]
	v_cmp_gt_i32_e32 vcc, s44, v1
	s_and_saveexec_b64 s[4:5], vcc
	s_cbranch_execz .LBB13_7
; %bb.6:
	v_add_u32_e32 v2, s38, v1
	v_mov_b32_e32 v3, 0
	v_lshlrev_b64 v[2:3], 2, v[2:3]
	v_mov_b32_e32 v4, s43
	v_add_co_u32_e32 v2, vcc, s42, v2
	v_addc_co_u32_e32 v3, vcc, v4, v3, vcc
	global_load_dword v46, v[2:3], off
	v_add_u32_e32 v1, 0x100, v1
.LBB13_7:
	s_or_b64 exec, exec, s[4:5]
	v_cmp_gt_i32_e32 vcc, s44, v1
	v_mov_b32_e32 v47, 0
	v_mov_b32_e32 v56, 0
	s_and_saveexec_b64 s[4:5], vcc
	s_cbranch_execnz .LBB13_22
; %bb.8:
	s_or_b64 exec, exec, s[4:5]
	v_cmp_gt_i32_e32 vcc, s44, v1
	s_and_saveexec_b64 s[4:5], vcc
	s_cbranch_execnz .LBB13_23
.LBB13_9:
	s_or_b64 exec, exec, s[4:5]
                                        ; implicit-def: $vgpr42_vgpr43_vgpr44_vgpr45
	s_and_saveexec_b64 s[42:43], s[36:37]
	s_cbranch_execz .LBB13_11
.LBB13_10:
	s_getpc_b64 s[4:5]
	s_add_u32 s4, s4, _Z17bessel_j1_forwardIfET_S0_@rel32@lo+4
	s_addc_u32 s5, s5, _Z17bessel_j1_forwardIfET_S0_@rel32@hi+12
	s_swappc_b64 s[30:31], s[4:5]
	v_mov_b32_e32 v42, v0
.LBB13_11:
	s_or_b64 exec, exec, s[42:43]
	v_or_b32_e32 v57, 0x100, v41
	v_cmp_gt_i32_e32 vcc, s44, v57
	s_and_saveexec_b64 s[42:43], vcc
	s_cbranch_execz .LBB13_13
; %bb.12:
	s_waitcnt vmcnt(0)
	v_mov_b32_e32 v0, v46
	s_getpc_b64 s[4:5]
	s_add_u32 s4, s4, _Z17bessel_j1_forwardIfET_S0_@rel32@lo+4
	s_addc_u32 s5, s5, _Z17bessel_j1_forwardIfET_S0_@rel32@hi+12
	s_swappc_b64 s[30:31], s[4:5]
	v_mov_b32_e32 v43, v0
.LBB13_13:
	s_or_b64 exec, exec, s[42:43]
	s_waitcnt vmcnt(0)
	v_or_b32_e32 v0, 0x200, v41
	v_cmp_gt_i32_e32 vcc, s44, v0
	s_and_saveexec_b64 s[42:43], vcc
	s_cbranch_execz .LBB13_15
; %bb.14:
	v_mov_b32_e32 v0, v56
	s_getpc_b64 s[4:5]
	s_add_u32 s4, s4, _Z17bessel_j1_forwardIfET_S0_@rel32@lo+4
	s_addc_u32 s5, s5, _Z17bessel_j1_forwardIfET_S0_@rel32@hi+12
	s_swappc_b64 s[30:31], s[4:5]
	v_mov_b32_e32 v44, v0
.LBB13_15:
	s_or_b64 exec, exec, s[42:43]
	v_or_b32_e32 v0, 0x300, v41
	v_cmp_gt_i32_e32 vcc, s44, v0
	s_and_saveexec_b64 s[42:43], vcc
	s_cbranch_execnz .LBB13_24
; %bb.16:
	s_or_b64 exec, exec, s[42:43]
	s_and_saveexec_b64 s[4:5], s[36:37]
	s_xor_b64 s[4:5], exec, s[4:5]
	s_cbranch_execnz .LBB13_25
.LBB13_17:
	s_or_b64 exec, exec, s[4:5]
	v_cmp_gt_i32_e32 vcc, s44, v41
	s_and_saveexec_b64 s[4:5], vcc
	s_cbranch_execnz .LBB13_26
.LBB13_18:
	s_or_b64 exec, exec, s[4:5]
	v_cmp_gt_i32_e32 vcc, s44, v41
	s_and_saveexec_b64 s[4:5], vcc
	s_cbranch_execnz .LBB13_27
.LBB13_19:
	s_or_b64 exec, exec, s[4:5]
	v_cmp_gt_i32_e32 vcc, s44, v41
	s_and_saveexec_b64 s[4:5], vcc
	s_cbranch_execz .LBB13_21
.LBB13_20:
	v_add_u32_e32 v0, s38, v41
	v_mov_b32_e32 v1, 0
	v_lshlrev_b64 v[0:1], 2, v[0:1]
	v_mov_b32_e32 v2, s41
	v_add_co_u32_e32 v0, vcc, s40, v0
	v_addc_co_u32_e32 v1, vcc, v2, v1, vcc
	global_store_dword v[0:1], v45, off
.LBB13_21:
	s_endpgm
.LBB13_22:
	v_add_u32_e32 v2, s38, v1
	v_mov_b32_e32 v3, 0
	v_lshlrev_b64 v[2:3], 2, v[2:3]
	v_mov_b32_e32 v4, s43
	v_add_co_u32_e32 v2, vcc, s42, v2
	v_addc_co_u32_e32 v3, vcc, v4, v3, vcc
	global_load_dword v56, v[2:3], off
	v_add_u32_e32 v1, 0x100, v1
	s_or_b64 exec, exec, s[4:5]
	v_cmp_gt_i32_e32 vcc, s44, v1
	s_and_saveexec_b64 s[4:5], vcc
	s_cbranch_execz .LBB13_9
.LBB13_23:
	v_add_u32_e32 v2, s38, v1
	v_mov_b32_e32 v3, 0
	v_lshlrev_b64 v[2:3], 2, v[2:3]
	v_mov_b32_e32 v1, s43
	v_add_co_u32_e32 v2, vcc, s42, v2
	v_addc_co_u32_e32 v3, vcc, v1, v3, vcc
	global_load_dword v47, v[2:3], off
	s_or_b64 exec, exec, s[4:5]
                                        ; implicit-def: $vgpr42_vgpr43_vgpr44_vgpr45
	s_and_saveexec_b64 s[42:43], s[36:37]
	s_cbranch_execnz .LBB13_10
	s_branch .LBB13_11
.LBB13_24:
	v_mov_b32_e32 v0, v47
	s_getpc_b64 s[4:5]
	s_add_u32 s4, s4, _Z17bessel_j1_forwardIfET_S0_@rel32@lo+4
	s_addc_u32 s5, s5, _Z17bessel_j1_forwardIfET_S0_@rel32@hi+12
	s_swappc_b64 s[30:31], s[4:5]
	v_mov_b32_e32 v45, v0
	s_or_b64 exec, exec, s[42:43]
	s_and_saveexec_b64 s[4:5], s[36:37]
	s_xor_b64 s[4:5], exec, s[4:5]
	s_cbranch_execz .LBB13_17
.LBB13_25:
	v_mov_b32_e32 v59, 0
	v_lshlrev_b64 v[0:1], 2, v[58:59]
	v_mov_b32_e32 v2, s41
	v_add_co_u32_e32 v0, vcc, s40, v0
	v_addc_co_u32_e32 v1, vcc, v2, v1, vcc
	v_mov_b32_e32 v41, v57
	global_store_dword v[0:1], v42, off
	s_or_b64 exec, exec, s[4:5]
	v_cmp_gt_i32_e32 vcc, s44, v41
	s_and_saveexec_b64 s[4:5], vcc
	s_cbranch_execz .LBB13_18
.LBB13_26:
	v_add_u32_e32 v0, s38, v41
	v_mov_b32_e32 v1, 0
	v_lshlrev_b64 v[0:1], 2, v[0:1]
	v_mov_b32_e32 v2, s41
	v_add_co_u32_e32 v0, vcc, s40, v0
	v_addc_co_u32_e32 v1, vcc, v2, v1, vcc
	v_add_u32_e32 v41, 0x100, v41
	global_store_dword v[0:1], v43, off
	s_or_b64 exec, exec, s[4:5]
	v_cmp_gt_i32_e32 vcc, s44, v41
	s_and_saveexec_b64 s[4:5], vcc
	s_cbranch_execz .LBB13_19
.LBB13_27:
	v_add_u32_e32 v0, s38, v41
	v_mov_b32_e32 v1, 0
	v_lshlrev_b64 v[0:1], 2, v[0:1]
	v_mov_b32_e32 v2, s41
	v_add_co_u32_e32 v0, vcc, s40, v0
	v_addc_co_u32_e32 v1, vcc, v2, v1, vcc
	v_add_u32_e32 v41, 0x100, v41
	global_store_dword v[0:1], v44, off
	s_or_b64 exec, exec, s[4:5]
	v_cmp_gt_i32_e32 vcc, s44, v41
	s_and_saveexec_b64 s[4:5], vcc
	s_cbranch_execnz .LBB13_20
	s_branch .LBB13_21
	.section	.rodata,"a",@progbits
	.p2align	6, 0x0
	.amdhsa_kernel _ZN2at6native29vectorized_elementwise_kernelILi2EZZZNS0_12_GLOBAL__N_121bessel_j1_kernel_cudaERNS_18TensorIteratorBaseEENKUlvE_clEvENKUlvE0_clEvEUlfE_St5arrayIPcLm2EEEEviT0_T1_
		.amdhsa_group_segment_fixed_size 0
		.amdhsa_private_segment_fixed_size 16
		.amdhsa_kernarg_size 24
		.amdhsa_user_sgpr_count 8
		.amdhsa_user_sgpr_private_segment_buffer 1
		.amdhsa_user_sgpr_dispatch_ptr 0
		.amdhsa_user_sgpr_queue_ptr 0
		.amdhsa_user_sgpr_kernarg_segment_ptr 1
		.amdhsa_user_sgpr_dispatch_id 0
		.amdhsa_user_sgpr_flat_scratch_init 1
		.amdhsa_user_sgpr_kernarg_preload_length 0
		.amdhsa_user_sgpr_kernarg_preload_offset 0
		.amdhsa_user_sgpr_private_segment_size 0
		.amdhsa_uses_dynamic_stack 1
		.amdhsa_system_sgpr_private_segment_wavefront_offset 1
		.amdhsa_system_sgpr_workgroup_id_x 1
		.amdhsa_system_sgpr_workgroup_id_y 0
		.amdhsa_system_sgpr_workgroup_id_z 0
		.amdhsa_system_sgpr_workgroup_info 0
		.amdhsa_system_vgpr_workitem_id 0
		.amdhsa_next_free_vgpr 60
		.amdhsa_next_free_sgpr 48
		.amdhsa_accum_offset 60
		.amdhsa_reserve_vcc 1
		.amdhsa_reserve_flat_scratch 1
		.amdhsa_float_round_mode_32 0
		.amdhsa_float_round_mode_16_64 0
		.amdhsa_float_denorm_mode_32 3
		.amdhsa_float_denorm_mode_16_64 3
		.amdhsa_dx10_clamp 1
		.amdhsa_ieee_mode 1
		.amdhsa_fp16_overflow 0
		.amdhsa_tg_split 0
		.amdhsa_exception_fp_ieee_invalid_op 0
		.amdhsa_exception_fp_denorm_src 0
		.amdhsa_exception_fp_ieee_div_zero 0
		.amdhsa_exception_fp_ieee_overflow 0
		.amdhsa_exception_fp_ieee_underflow 0
		.amdhsa_exception_fp_ieee_inexact 0
		.amdhsa_exception_int_div_zero 0
	.end_amdhsa_kernel
	.section	.text._ZN2at6native29vectorized_elementwise_kernelILi2EZZZNS0_12_GLOBAL__N_121bessel_j1_kernel_cudaERNS_18TensorIteratorBaseEENKUlvE_clEvENKUlvE0_clEvEUlfE_St5arrayIPcLm2EEEEviT0_T1_,"axG",@progbits,_ZN2at6native29vectorized_elementwise_kernelILi2EZZZNS0_12_GLOBAL__N_121bessel_j1_kernel_cudaERNS_18TensorIteratorBaseEENKUlvE_clEvENKUlvE0_clEvEUlfE_St5arrayIPcLm2EEEEviT0_T1_,comdat
.Lfunc_end13:
	.size	_ZN2at6native29vectorized_elementwise_kernelILi2EZZZNS0_12_GLOBAL__N_121bessel_j1_kernel_cudaERNS_18TensorIteratorBaseEENKUlvE_clEvENKUlvE0_clEvEUlfE_St5arrayIPcLm2EEEEviT0_T1_, .Lfunc_end13-_ZN2at6native29vectorized_elementwise_kernelILi2EZZZNS0_12_GLOBAL__N_121bessel_j1_kernel_cudaERNS_18TensorIteratorBaseEENKUlvE_clEvENKUlvE0_clEvEUlfE_St5arrayIPcLm2EEEEviT0_T1_
                                        ; -- End function
	.section	.AMDGPU.csdata,"",@progbits
; Kernel info:
; codeLenInByte = 1004
; NumSgprs: 54
; NumVgprs: 60
; NumAgprs: 0
; TotalNumVgprs: 60
; ScratchSize: 16
; MemoryBound: 0
; FloatMode: 240
; IeeeMode: 1
; LDSByteSize: 0 bytes/workgroup (compile time only)
; SGPRBlocks: 6
; VGPRBlocks: 7
; NumSGPRsForWavesPerEU: 54
; NumVGPRsForWavesPerEU: 60
; AccumOffset: 60
; Occupancy: 8
; WaveLimiterHint : 1
; COMPUTE_PGM_RSRC2:SCRATCH_EN: 1
; COMPUTE_PGM_RSRC2:USER_SGPR: 8
; COMPUTE_PGM_RSRC2:TRAP_HANDLER: 0
; COMPUTE_PGM_RSRC2:TGID_X_EN: 1
; COMPUTE_PGM_RSRC2:TGID_Y_EN: 0
; COMPUTE_PGM_RSRC2:TGID_Z_EN: 0
; COMPUTE_PGM_RSRC2:TIDIG_COMP_CNT: 0
; COMPUTE_PGM_RSRC3_GFX90A:ACCUM_OFFSET: 14
; COMPUTE_PGM_RSRC3_GFX90A:TG_SPLIT: 0
	.section	.text._ZN2at6native27unrolled_elementwise_kernelIZZZNS0_12_GLOBAL__N_121bessel_j1_kernel_cudaERNS_18TensorIteratorBaseEENKUlvE_clEvENKUlvE0_clEvEUlfE_St5arrayIPcLm2EELi4E23TrivialOffsetCalculatorILi1EjESC_NS0_6memory15LoadWithoutCastENSD_16StoreWithoutCastEEEviT_T0_T2_T3_T4_T5_,"axG",@progbits,_ZN2at6native27unrolled_elementwise_kernelIZZZNS0_12_GLOBAL__N_121bessel_j1_kernel_cudaERNS_18TensorIteratorBaseEENKUlvE_clEvENKUlvE0_clEvEUlfE_St5arrayIPcLm2EELi4E23TrivialOffsetCalculatorILi1EjESC_NS0_6memory15LoadWithoutCastENSD_16StoreWithoutCastEEEviT_T0_T2_T3_T4_T5_,comdat
	.globl	_ZN2at6native27unrolled_elementwise_kernelIZZZNS0_12_GLOBAL__N_121bessel_j1_kernel_cudaERNS_18TensorIteratorBaseEENKUlvE_clEvENKUlvE0_clEvEUlfE_St5arrayIPcLm2EELi4E23TrivialOffsetCalculatorILi1EjESC_NS0_6memory15LoadWithoutCastENSD_16StoreWithoutCastEEEviT_T0_T2_T3_T4_T5_ ; -- Begin function _ZN2at6native27unrolled_elementwise_kernelIZZZNS0_12_GLOBAL__N_121bessel_j1_kernel_cudaERNS_18TensorIteratorBaseEENKUlvE_clEvENKUlvE0_clEvEUlfE_St5arrayIPcLm2EELi4E23TrivialOffsetCalculatorILi1EjESC_NS0_6memory15LoadWithoutCastENSD_16StoreWithoutCastEEEviT_T0_T2_T3_T4_T5_
	.p2align	8
	.type	_ZN2at6native27unrolled_elementwise_kernelIZZZNS0_12_GLOBAL__N_121bessel_j1_kernel_cudaERNS_18TensorIteratorBaseEENKUlvE_clEvENKUlvE0_clEvEUlfE_St5arrayIPcLm2EELi4E23TrivialOffsetCalculatorILi1EjESC_NS0_6memory15LoadWithoutCastENSD_16StoreWithoutCastEEEviT_T0_T2_T3_T4_T5_,@function
_ZN2at6native27unrolled_elementwise_kernelIZZZNS0_12_GLOBAL__N_121bessel_j1_kernel_cudaERNS_18TensorIteratorBaseEENKUlvE_clEvENKUlvE0_clEvEUlfE_St5arrayIPcLm2EELi4E23TrivialOffsetCalculatorILi1EjESC_NS0_6memory15LoadWithoutCastENSD_16StoreWithoutCastEEEviT_T0_T2_T3_T4_T5_: ; @_ZN2at6native27unrolled_elementwise_kernelIZZZNS0_12_GLOBAL__N_121bessel_j1_kernel_cudaERNS_18TensorIteratorBaseEENKUlvE_clEvENKUlvE0_clEvEUlfE_St5arrayIPcLm2EELi4E23TrivialOffsetCalculatorILi1EjESC_NS0_6memory15LoadWithoutCastENSD_16StoreWithoutCastEEEviT_T0_T2_T3_T4_T5_
; %bb.0:
	s_add_u32 flat_scratch_lo, s6, s9
	s_load_dword s6, s[4:5], 0x0
	s_load_dwordx4 s[40:43], s[4:5], 0x8
	s_addc_u32 flat_scratch_hi, s7, 0
	s_add_u32 s0, s0, s9
	s_addc_u32 s1, s1, 0
	s_lshl_b32 s44, s8, 10
	v_mov_b32_e32 v41, v0
	s_waitcnt lgkmcnt(0)
	s_sub_i32 s45, s6, s44
	v_cmp_gt_i32_e64 s[36:37], s45, v41
	v_mov_b32_e32 v46, 0
	v_or_b32_e32 v58, s44, v41
	v_mov_b32_e32 v0, 0
	v_mov_b32_e32 v1, v41
	s_mov_b32 s32, 0
	s_and_saveexec_b64 s[4:5], s[36:37]
	s_cbranch_execz .LBB14_2
; %bb.1:
	v_mov_b32_e32 v59, 0
	v_lshlrev_b64 v[0:1], 2, v[58:59]
	v_mov_b32_e32 v2, s43
	v_add_co_u32_e32 v0, vcc, s42, v0
	v_addc_co_u32_e32 v1, vcc, v2, v1, vcc
	global_load_dword v0, v[0:1], off
	v_or_b32_e32 v1, 0x100, v41
.LBB14_2:
	s_or_b64 exec, exec, s[4:5]
	v_cmp_gt_i32_e32 vcc, s45, v1
	s_and_saveexec_b64 s[4:5], vcc
	s_cbranch_execz .LBB14_4
; %bb.3:
	v_add_u32_e32 v2, s44, v1
	v_mov_b32_e32 v3, 0
	v_lshlrev_b64 v[2:3], 2, v[2:3]
	v_mov_b32_e32 v4, s43
	v_add_co_u32_e32 v2, vcc, s42, v2
	v_addc_co_u32_e32 v3, vcc, v4, v3, vcc
	global_load_dword v46, v[2:3], off
	v_add_u32_e32 v1, 0x100, v1
.LBB14_4:
	s_or_b64 exec, exec, s[4:5]
	v_cmp_gt_i32_e32 vcc, s45, v1
	v_mov_b32_e32 v47, 0
	v_mov_b32_e32 v56, 0
	s_and_saveexec_b64 s[4:5], vcc
	s_cbranch_execnz .LBB14_18
; %bb.5:
	s_or_b64 exec, exec, s[4:5]
	v_cmp_gt_i32_e32 vcc, s45, v1
	s_and_saveexec_b64 s[4:5], vcc
	s_cbranch_execnz .LBB14_19
.LBB14_6:
	s_or_b64 exec, exec, s[4:5]
                                        ; implicit-def: $vgpr42_vgpr43_vgpr44_vgpr45
	s_and_saveexec_b64 s[38:39], s[36:37]
	s_cbranch_execz .LBB14_8
.LBB14_7:
	s_getpc_b64 s[4:5]
	s_add_u32 s4, s4, _Z17bessel_j1_forwardIfET_S0_@rel32@lo+4
	s_addc_u32 s5, s5, _Z17bessel_j1_forwardIfET_S0_@rel32@hi+12
	s_swappc_b64 s[30:31], s[4:5]
	v_mov_b32_e32 v42, v0
.LBB14_8:
	s_or_b64 exec, exec, s[38:39]
	v_or_b32_e32 v57, 0x100, v41
	v_cmp_gt_i32_e32 vcc, s45, v57
	s_and_saveexec_b64 s[38:39], vcc
	s_cbranch_execz .LBB14_10
; %bb.9:
	s_waitcnt vmcnt(0)
	v_mov_b32_e32 v0, v46
	s_getpc_b64 s[4:5]
	s_add_u32 s4, s4, _Z17bessel_j1_forwardIfET_S0_@rel32@lo+4
	s_addc_u32 s5, s5, _Z17bessel_j1_forwardIfET_S0_@rel32@hi+12
	s_swappc_b64 s[30:31], s[4:5]
	v_mov_b32_e32 v43, v0
.LBB14_10:
	s_or_b64 exec, exec, s[38:39]
	s_waitcnt vmcnt(0)
	v_or_b32_e32 v0, 0x200, v41
	v_cmp_gt_i32_e32 vcc, s45, v0
	s_and_saveexec_b64 s[38:39], vcc
	s_cbranch_execz .LBB14_12
; %bb.11:
	v_mov_b32_e32 v0, v56
	s_getpc_b64 s[4:5]
	s_add_u32 s4, s4, _Z17bessel_j1_forwardIfET_S0_@rel32@lo+4
	s_addc_u32 s5, s5, _Z17bessel_j1_forwardIfET_S0_@rel32@hi+12
	s_swappc_b64 s[30:31], s[4:5]
	v_mov_b32_e32 v44, v0
.LBB14_12:
	s_or_b64 exec, exec, s[38:39]
	v_or_b32_e32 v0, 0x300, v41
	v_cmp_gt_i32_e32 vcc, s45, v0
	s_and_saveexec_b64 s[38:39], vcc
	s_cbranch_execnz .LBB14_20
; %bb.13:
	s_or_b64 exec, exec, s[38:39]
	s_and_saveexec_b64 s[4:5], s[36:37]
	s_xor_b64 s[4:5], exec, s[4:5]
	s_cbranch_execnz .LBB14_21
.LBB14_14:
	s_or_b64 exec, exec, s[4:5]
	v_cmp_gt_i32_e32 vcc, s45, v41
	s_and_saveexec_b64 s[4:5], vcc
	s_cbranch_execnz .LBB14_22
.LBB14_15:
	s_or_b64 exec, exec, s[4:5]
	v_cmp_gt_i32_e32 vcc, s45, v41
	s_and_saveexec_b64 s[4:5], vcc
	s_cbranch_execnz .LBB14_23
.LBB14_16:
	s_or_b64 exec, exec, s[4:5]
	v_cmp_gt_i32_e32 vcc, s45, v41
	s_and_saveexec_b64 s[4:5], vcc
	s_cbranch_execnz .LBB14_24
.LBB14_17:
	s_endpgm
.LBB14_18:
	v_add_u32_e32 v2, s44, v1
	v_mov_b32_e32 v3, 0
	v_lshlrev_b64 v[2:3], 2, v[2:3]
	v_mov_b32_e32 v4, s43
	v_add_co_u32_e32 v2, vcc, s42, v2
	v_addc_co_u32_e32 v3, vcc, v4, v3, vcc
	global_load_dword v56, v[2:3], off
	v_add_u32_e32 v1, 0x100, v1
	s_or_b64 exec, exec, s[4:5]
	v_cmp_gt_i32_e32 vcc, s45, v1
	s_and_saveexec_b64 s[4:5], vcc
	s_cbranch_execz .LBB14_6
.LBB14_19:
	v_add_u32_e32 v2, s44, v1
	v_mov_b32_e32 v3, 0
	v_lshlrev_b64 v[2:3], 2, v[2:3]
	v_mov_b32_e32 v1, s43
	v_add_co_u32_e32 v2, vcc, s42, v2
	v_addc_co_u32_e32 v3, vcc, v1, v3, vcc
	global_load_dword v47, v[2:3], off
	s_or_b64 exec, exec, s[4:5]
                                        ; implicit-def: $vgpr42_vgpr43_vgpr44_vgpr45
	s_and_saveexec_b64 s[38:39], s[36:37]
	s_cbranch_execnz .LBB14_7
	s_branch .LBB14_8
.LBB14_20:
	v_mov_b32_e32 v0, v47
	s_getpc_b64 s[4:5]
	s_add_u32 s4, s4, _Z17bessel_j1_forwardIfET_S0_@rel32@lo+4
	s_addc_u32 s5, s5, _Z17bessel_j1_forwardIfET_S0_@rel32@hi+12
	s_swappc_b64 s[30:31], s[4:5]
	v_mov_b32_e32 v45, v0
	s_or_b64 exec, exec, s[38:39]
	s_and_saveexec_b64 s[4:5], s[36:37]
	s_xor_b64 s[4:5], exec, s[4:5]
	s_cbranch_execz .LBB14_14
.LBB14_21:
	v_mov_b32_e32 v59, 0
	v_lshlrev_b64 v[0:1], 2, v[58:59]
	v_mov_b32_e32 v2, s41
	v_add_co_u32_e32 v0, vcc, s40, v0
	v_addc_co_u32_e32 v1, vcc, v2, v1, vcc
	v_mov_b32_e32 v41, v57
	global_store_dword v[0:1], v42, off
	s_or_b64 exec, exec, s[4:5]
	v_cmp_gt_i32_e32 vcc, s45, v41
	s_and_saveexec_b64 s[4:5], vcc
	s_cbranch_execz .LBB14_15
.LBB14_22:
	v_add_u32_e32 v0, s44, v41
	v_mov_b32_e32 v1, 0
	v_lshlrev_b64 v[0:1], 2, v[0:1]
	v_add_u32_e32 v2, 0x100, v41
	v_mov_b32_e32 v3, s41
	v_add_co_u32_e32 v0, vcc, s40, v0
	v_addc_co_u32_e32 v1, vcc, v3, v1, vcc
	v_mov_b32_e32 v41, v2
	global_store_dword v[0:1], v43, off
	s_or_b64 exec, exec, s[4:5]
	v_cmp_gt_i32_e32 vcc, s45, v41
	s_and_saveexec_b64 s[4:5], vcc
	s_cbranch_execz .LBB14_16
.LBB14_23:
	v_add_u32_e32 v0, s44, v41
	v_mov_b32_e32 v1, 0
	v_lshlrev_b64 v[0:1], 2, v[0:1]
	v_add_u32_e32 v2, 0x100, v41
	v_mov_b32_e32 v3, s41
	v_add_co_u32_e32 v0, vcc, s40, v0
	v_addc_co_u32_e32 v1, vcc, v3, v1, vcc
	v_mov_b32_e32 v41, v2
	global_store_dword v[0:1], v44, off
	s_or_b64 exec, exec, s[4:5]
	v_cmp_gt_i32_e32 vcc, s45, v41
	s_and_saveexec_b64 s[4:5], vcc
	s_cbranch_execz .LBB14_17
.LBB14_24:
	v_add_u32_e32 v0, s44, v41
	v_mov_b32_e32 v1, 0
	v_lshlrev_b64 v[0:1], 2, v[0:1]
	v_mov_b32_e32 v2, s41
	v_add_co_u32_e32 v0, vcc, s40, v0
	v_addc_co_u32_e32 v1, vcc, v2, v1, vcc
	global_store_dword v[0:1], v45, off
	s_endpgm
	.section	.rodata,"a",@progbits
	.p2align	6, 0x0
	.amdhsa_kernel _ZN2at6native27unrolled_elementwise_kernelIZZZNS0_12_GLOBAL__N_121bessel_j1_kernel_cudaERNS_18TensorIteratorBaseEENKUlvE_clEvENKUlvE0_clEvEUlfE_St5arrayIPcLm2EELi4E23TrivialOffsetCalculatorILi1EjESC_NS0_6memory15LoadWithoutCastENSD_16StoreWithoutCastEEEviT_T0_T2_T3_T4_T5_
		.amdhsa_group_segment_fixed_size 0
		.amdhsa_private_segment_fixed_size 16
		.amdhsa_kernarg_size 28
		.amdhsa_user_sgpr_count 8
		.amdhsa_user_sgpr_private_segment_buffer 1
		.amdhsa_user_sgpr_dispatch_ptr 0
		.amdhsa_user_sgpr_queue_ptr 0
		.amdhsa_user_sgpr_kernarg_segment_ptr 1
		.amdhsa_user_sgpr_dispatch_id 0
		.amdhsa_user_sgpr_flat_scratch_init 1
		.amdhsa_user_sgpr_kernarg_preload_length 0
		.amdhsa_user_sgpr_kernarg_preload_offset 0
		.amdhsa_user_sgpr_private_segment_size 0
		.amdhsa_uses_dynamic_stack 1
		.amdhsa_system_sgpr_private_segment_wavefront_offset 1
		.amdhsa_system_sgpr_workgroup_id_x 1
		.amdhsa_system_sgpr_workgroup_id_y 0
		.amdhsa_system_sgpr_workgroup_id_z 0
		.amdhsa_system_sgpr_workgroup_info 0
		.amdhsa_system_vgpr_workitem_id 0
		.amdhsa_next_free_vgpr 60
		.amdhsa_next_free_sgpr 46
		.amdhsa_accum_offset 60
		.amdhsa_reserve_vcc 1
		.amdhsa_reserve_flat_scratch 1
		.amdhsa_float_round_mode_32 0
		.amdhsa_float_round_mode_16_64 0
		.amdhsa_float_denorm_mode_32 3
		.amdhsa_float_denorm_mode_16_64 3
		.amdhsa_dx10_clamp 1
		.amdhsa_ieee_mode 1
		.amdhsa_fp16_overflow 0
		.amdhsa_tg_split 0
		.amdhsa_exception_fp_ieee_invalid_op 0
		.amdhsa_exception_fp_denorm_src 0
		.amdhsa_exception_fp_ieee_div_zero 0
		.amdhsa_exception_fp_ieee_overflow 0
		.amdhsa_exception_fp_ieee_underflow 0
		.amdhsa_exception_fp_ieee_inexact 0
		.amdhsa_exception_int_div_zero 0
	.end_amdhsa_kernel
	.section	.text._ZN2at6native27unrolled_elementwise_kernelIZZZNS0_12_GLOBAL__N_121bessel_j1_kernel_cudaERNS_18TensorIteratorBaseEENKUlvE_clEvENKUlvE0_clEvEUlfE_St5arrayIPcLm2EELi4E23TrivialOffsetCalculatorILi1EjESC_NS0_6memory15LoadWithoutCastENSD_16StoreWithoutCastEEEviT_T0_T2_T3_T4_T5_,"axG",@progbits,_ZN2at6native27unrolled_elementwise_kernelIZZZNS0_12_GLOBAL__N_121bessel_j1_kernel_cudaERNS_18TensorIteratorBaseEENKUlvE_clEvENKUlvE0_clEvEUlfE_St5arrayIPcLm2EELi4E23TrivialOffsetCalculatorILi1EjESC_NS0_6memory15LoadWithoutCastENSD_16StoreWithoutCastEEEviT_T0_T2_T3_T4_T5_,comdat
.Lfunc_end14:
	.size	_ZN2at6native27unrolled_elementwise_kernelIZZZNS0_12_GLOBAL__N_121bessel_j1_kernel_cudaERNS_18TensorIteratorBaseEENKUlvE_clEvENKUlvE0_clEvEUlfE_St5arrayIPcLm2EELi4E23TrivialOffsetCalculatorILi1EjESC_NS0_6memory15LoadWithoutCastENSD_16StoreWithoutCastEEEviT_T0_T2_T3_T4_T5_, .Lfunc_end14-_ZN2at6native27unrolled_elementwise_kernelIZZZNS0_12_GLOBAL__N_121bessel_j1_kernel_cudaERNS_18TensorIteratorBaseEENKUlvE_clEvENKUlvE0_clEvEUlfE_St5arrayIPcLm2EELi4E23TrivialOffsetCalculatorILi1EjESC_NS0_6memory15LoadWithoutCastENSD_16StoreWithoutCastEEEviT_T0_T2_T3_T4_T5_
                                        ; -- End function
	.section	.AMDGPU.csdata,"",@progbits
; Kernel info:
; codeLenInByte = 856
; NumSgprs: 52
; NumVgprs: 60
; NumAgprs: 0
; TotalNumVgprs: 60
; ScratchSize: 16
; MemoryBound: 0
; FloatMode: 240
; IeeeMode: 1
; LDSByteSize: 0 bytes/workgroup (compile time only)
; SGPRBlocks: 6
; VGPRBlocks: 7
; NumSGPRsForWavesPerEU: 52
; NumVGPRsForWavesPerEU: 60
; AccumOffset: 60
; Occupancy: 8
; WaveLimiterHint : 0
; COMPUTE_PGM_RSRC2:SCRATCH_EN: 1
; COMPUTE_PGM_RSRC2:USER_SGPR: 8
; COMPUTE_PGM_RSRC2:TRAP_HANDLER: 0
; COMPUTE_PGM_RSRC2:TGID_X_EN: 1
; COMPUTE_PGM_RSRC2:TGID_Y_EN: 0
; COMPUTE_PGM_RSRC2:TGID_Z_EN: 0
; COMPUTE_PGM_RSRC2:TIDIG_COMP_CNT: 0
; COMPUTE_PGM_RSRC3_GFX90A:ACCUM_OFFSET: 14
; COMPUTE_PGM_RSRC3_GFX90A:TG_SPLIT: 0
	.section	.text._ZN2at6native32elementwise_kernel_manual_unrollILi128ELi4EZNS0_22gpu_kernel_impl_nocastIZZZNS0_12_GLOBAL__N_121bessel_j1_kernel_cudaERNS_18TensorIteratorBaseEENKUlvE_clEvENKUlvE0_clEvEUlfE_EEvS5_RKT_EUlibE_EEviT1_,"axG",@progbits,_ZN2at6native32elementwise_kernel_manual_unrollILi128ELi4EZNS0_22gpu_kernel_impl_nocastIZZZNS0_12_GLOBAL__N_121bessel_j1_kernel_cudaERNS_18TensorIteratorBaseEENKUlvE_clEvENKUlvE0_clEvEUlfE_EEvS5_RKT_EUlibE_EEviT1_,comdat
	.globl	_ZN2at6native32elementwise_kernel_manual_unrollILi128ELi4EZNS0_22gpu_kernel_impl_nocastIZZZNS0_12_GLOBAL__N_121bessel_j1_kernel_cudaERNS_18TensorIteratorBaseEENKUlvE_clEvENKUlvE0_clEvEUlfE_EEvS5_RKT_EUlibE_EEviT1_ ; -- Begin function _ZN2at6native32elementwise_kernel_manual_unrollILi128ELi4EZNS0_22gpu_kernel_impl_nocastIZZZNS0_12_GLOBAL__N_121bessel_j1_kernel_cudaERNS_18TensorIteratorBaseEENKUlvE_clEvENKUlvE0_clEvEUlfE_EEvS5_RKT_EUlibE_EEviT1_
	.p2align	8
	.type	_ZN2at6native32elementwise_kernel_manual_unrollILi128ELi4EZNS0_22gpu_kernel_impl_nocastIZZZNS0_12_GLOBAL__N_121bessel_j1_kernel_cudaERNS_18TensorIteratorBaseEENKUlvE_clEvENKUlvE0_clEvEUlfE_EEvS5_RKT_EUlibE_EEviT1_,@function
_ZN2at6native32elementwise_kernel_manual_unrollILi128ELi4EZNS0_22gpu_kernel_impl_nocastIZZZNS0_12_GLOBAL__N_121bessel_j1_kernel_cudaERNS_18TensorIteratorBaseEENKUlvE_clEvENKUlvE0_clEvEUlfE_EEvS5_RKT_EUlibE_EEviT1_: ; @_ZN2at6native32elementwise_kernel_manual_unrollILi128ELi4EZNS0_22gpu_kernel_impl_nocastIZZZNS0_12_GLOBAL__N_121bessel_j1_kernel_cudaERNS_18TensorIteratorBaseEENKUlvE_clEvENKUlvE0_clEvEUlfE_EEvS5_RKT_EUlibE_EEviT1_
; %bb.0:
	s_load_dword s66, s[4:5], 0x0
	s_load_dword s64, s[4:5], 0x8
	s_add_u32 flat_scratch_lo, s6, s9
	s_addc_u32 flat_scratch_hi, s7, 0
	s_add_u32 s0, s0, s9
	s_mov_b64 s[36:37], s[4:5]
	s_addc_u32 s1, s1, 0
	s_or_b32 s36, s36, 8
	v_lshl_or_b32 v41, s8, 9, v0
	s_waitcnt lgkmcnt(0)
	s_add_i32 s65, s64, -1
	v_or_b32_e32 v2, 0x180, v41
	s_cmp_gt_u32 s65, 1
	v_cmp_le_i32_e32 vcc, s66, v2
	s_cselect_b64 s[38:39], -1, 0
	s_mov_b32 s32, 0
	s_and_saveexec_b64 s[4:5], vcc
	s_xor_b64 s[52:53], exec, s[4:5]
	s_cbranch_execz .LBB15_8
; %bb.1:
	s_load_dwordx4 s[48:51], s[36:37], 0x4
	s_load_dwordx2 s[54:55], s[36:37], 0x14
	s_load_dwordx4 s[44:47], s[36:37], 0xc4
	s_load_dwordx4 s[40:43], s[36:37], 0x148
	s_cmp_lg_u32 s64, 0
	s_cselect_b64 s[60:61], -1, 0
	s_add_u32 s58, s36, 0xc4
	s_addc_u32 s59, s37, 0
	s_min_u32 s67, s65, 15
	s_cmp_gt_u32 s64, 1
	s_cselect_b64 s[56:57], -1, 0
	v_cmp_gt_i32_e32 vcc, s66, v41
	s_and_saveexec_b64 s[62:63], vcc
	s_cbranch_execz .LBB15_16
; %bb.2:
	s_andn2_b64 vcc, exec, s[38:39]
	s_cbranch_vccnz .LBB15_24
; %bb.3:
	s_mov_b32 s24, 0
	s_andn2_b64 vcc, exec, s[60:61]
	v_mov_b32_e32 v0, 0
	v_mov_b32_e32 v42, 0
	s_cbranch_vccnz .LBB15_80
; %bb.4:
	s_add_i32 s30, s67, 1
	s_cmp_eq_u32 s65, 2
	s_cbranch_scc1 .LBB15_75
; %bb.5:
	s_and_b32 s24, s30, 28
	s_mov_b32 s25, 0
	v_mov_b32_e32 v42, 0
	s_mov_b64 s[26:27], s[36:37]
	s_mov_b64 s[28:29], s[58:59]
	v_mov_b32_e32 v1, v41
	v_mov_b32_e32 v0, 0
.LBB15_6:                               ; =>This Inner Loop Header: Depth=1
	s_load_dwordx8 s[12:19], s[26:27], 0x4
	s_load_dwordx4 s[20:23], s[26:27], 0x24
	s_load_dwordx8 s[4:11], s[28:29], 0x0
	s_add_u32 s26, s26, 48
	s_addc_u32 s27, s27, 0
	s_waitcnt lgkmcnt(0)
	v_mul_hi_u32 v2, s13, v1
	v_add_u32_e32 v2, v1, v2
	v_lshrrev_b32_e32 v2, s14, v2
	v_mul_lo_u32 v3, v2, s12
	v_mul_hi_u32 v4, s16, v2
	v_sub_u32_e32 v1, v1, v3
	v_add_u32_e32 v3, v2, v4
	v_lshrrev_b32_e32 v3, s17, v3
	v_mul_lo_u32 v5, v3, s15
	v_mul_hi_u32 v6, s19, v3
	v_sub_u32_e32 v2, v2, v5
	v_add_u32_e32 v5, v3, v6
	v_mul_lo_u32 v4, v1, s5
	v_mul_lo_u32 v1, v1, s4
	;; [unrolled: 1-line block ×4, first 2 shown]
	v_lshrrev_b32_e32 v5, s20, v5
	v_add3_u32 v2, v1, v42, v2
	v_add3_u32 v0, v4, v0, v6
	v_mul_lo_u32 v1, v5, s18
	v_mul_hi_u32 v4, s22, v5
	v_sub_u32_e32 v1, v3, v1
	v_add_u32_e32 v3, v5, v4
	v_mul_lo_u32 v4, v1, s8
	v_mul_lo_u32 v6, v1, s9
	v_lshrrev_b32_e32 v1, s23, v3
	s_add_i32 s25, s25, 4
	v_mul_lo_u32 v3, v1, s21
	s_add_u32 s28, s28, 32
	v_sub_u32_e32 v3, v5, v3
	s_addc_u32 s29, s29, 0
	v_mul_lo_u32 v5, v3, s10
	v_mul_lo_u32 v3, v3, s11
	s_cmp_lg_u32 s24, s25
	v_add3_u32 v0, v6, v0, v3
	v_add3_u32 v42, v4, v2, v5
	s_cbranch_scc1 .LBB15_6
; %bb.7:
	v_mov_b32_e32 v43, v0
	s_branch .LBB15_76
.LBB15_8:
	s_andn2_saveexec_b64 s[4:5], s[52:53]
	s_cbranch_execz .LBB15_103
.LBB15_9:
	v_cndmask_b32_e64 v0, 0, 1, s[38:39]
	v_cmp_ne_u32_e64 s[4:5], 1, v0
	s_andn2_b64 vcc, exec, s[38:39]
	s_cbranch_vccnz .LBB15_23
; %bb.10:
	s_mov_b32 s6, 0
	s_cmp_lg_u32 s64, 0
	v_mov_b32_e32 v0, 0
	v_mov_b32_e32 v44, 0
	s_cbranch_scc0 .LBB15_15
; %bb.11:
	s_min_u32 s33, s65, 15
	s_add_i32 s33, s33, 1
	s_cmp_eq_u32 s65, 2
	s_cbranch_scc1 .LBB15_26
; %bb.12:
	s_add_u32 s28, s36, 0xc4
	s_addc_u32 s29, s37, 0
	s_and_b32 s6, s33, 28
	s_mov_b32 s7, 0
	v_mov_b32_e32 v44, 0
	s_mov_b64 s[30:31], s[36:37]
	v_mov_b32_e32 v1, v41
	v_mov_b32_e32 v0, 0
.LBB15_13:                              ; =>This Inner Loop Header: Depth=1
	s_load_dwordx8 s[16:23], s[30:31], 0x4
	s_load_dwordx4 s[24:27], s[30:31], 0x24
	s_load_dwordx8 s[8:15], s[28:29], 0x0
	s_add_u32 s30, s30, 48
	s_addc_u32 s31, s31, 0
	s_waitcnt lgkmcnt(0)
	v_mul_hi_u32 v3, s17, v1
	v_add_u32_e32 v3, v1, v3
	v_lshrrev_b32_e32 v3, s18, v3
	v_mul_lo_u32 v4, v3, s16
	v_mul_hi_u32 v5, s20, v3
	v_sub_u32_e32 v1, v1, v4
	v_add_u32_e32 v4, v3, v5
	v_lshrrev_b32_e32 v4, s21, v4
	v_mul_lo_u32 v6, v4, s19
	v_mul_hi_u32 v7, s23, v4
	v_sub_u32_e32 v3, v3, v6
	v_add_u32_e32 v6, v4, v7
	v_mul_lo_u32 v5, v1, s9
	v_mul_lo_u32 v1, v1, s8
	;; [unrolled: 1-line block ×4, first 2 shown]
	v_lshrrev_b32_e32 v6, s24, v6
	v_add3_u32 v3, v1, v44, v3
	v_add3_u32 v0, v5, v0, v7
	v_mul_lo_u32 v1, v6, s22
	v_mul_hi_u32 v5, s26, v6
	v_sub_u32_e32 v1, v4, v1
	v_add_u32_e32 v4, v6, v5
	v_mul_lo_u32 v5, v1, s12
	v_mul_lo_u32 v7, v1, s13
	v_lshrrev_b32_e32 v1, s27, v4
	s_add_i32 s7, s7, 4
	v_mul_lo_u32 v4, v1, s25
	s_add_u32 s28, s28, 32
	v_sub_u32_e32 v4, v6, v4
	s_addc_u32 s29, s29, 0
	v_mul_lo_u32 v6, v4, s14
	v_mul_lo_u32 v4, v4, s15
	s_cmp_lg_u32 s6, s7
	v_add3_u32 v0, v7, v0, v4
	v_add3_u32 v44, v5, v3, v6
	s_cbranch_scc1 .LBB15_13
; %bb.14:
	v_mov_b32_e32 v45, v0
	s_and_b32 s10, s33, 3
	s_cmp_eq_u32 s10, 0
	s_cbranch_scc0 .LBB15_27
.LBB15_15:
	s_cbranch_execz .LBB15_30
	s_branch .LBB15_32
.LBB15_16:
	s_or_b64 exec, exec, s[62:63]
	v_cmp_gt_i32_e32 vcc, s66, v41
	s_and_saveexec_b64 s[62:63], vcc
	s_cbranch_execz .LBB15_84
.LBB15_17:
	s_andn2_b64 vcc, exec, s[38:39]
	s_cbranch_vccnz .LBB15_25
; %bb.18:
	s_mov_b32 s24, 0
	s_andn2_b64 vcc, exec, s[60:61]
	v_mov_b32_e32 v0, 0
	v_mov_b32_e32 v42, 0
	s_cbranch_vccnz .LBB15_97
; %bb.19:
	s_add_i32 s30, s67, 1
	s_cmp_eq_u32 s65, 2
	s_cbranch_scc1 .LBB15_92
; %bb.20:
	s_and_b32 s24, s30, 28
	s_mov_b32 s25, 0
	v_mov_b32_e32 v42, 0
	s_mov_b64 s[26:27], s[36:37]
	s_mov_b64 s[28:29], s[58:59]
	v_mov_b32_e32 v1, v41
	v_mov_b32_e32 v0, 0
.LBB15_21:                              ; =>This Inner Loop Header: Depth=1
	s_load_dwordx8 s[12:19], s[26:27], 0x4
	s_load_dwordx4 s[20:23], s[26:27], 0x24
	s_load_dwordx8 s[4:11], s[28:29], 0x0
	s_add_u32 s26, s26, 48
	s_addc_u32 s27, s27, 0
	s_waitcnt lgkmcnt(0)
	v_mul_hi_u32 v2, s13, v1
	v_add_u32_e32 v2, v1, v2
	v_lshrrev_b32_e32 v2, s14, v2
	v_mul_lo_u32 v3, v2, s12
	v_mul_hi_u32 v4, s16, v2
	v_sub_u32_e32 v1, v1, v3
	v_add_u32_e32 v3, v2, v4
	v_lshrrev_b32_e32 v3, s17, v3
	v_mul_lo_u32 v5, v3, s15
	v_mul_hi_u32 v6, s19, v3
	v_sub_u32_e32 v2, v2, v5
	v_add_u32_e32 v5, v3, v6
	v_mul_lo_u32 v4, v1, s5
	v_mul_lo_u32 v1, v1, s4
	;; [unrolled: 1-line block ×4, first 2 shown]
	v_lshrrev_b32_e32 v5, s20, v5
	v_add3_u32 v2, v1, v42, v2
	v_add3_u32 v0, v4, v0, v6
	v_mul_lo_u32 v1, v5, s18
	v_mul_hi_u32 v4, s22, v5
	v_sub_u32_e32 v1, v3, v1
	v_add_u32_e32 v3, v5, v4
	v_mul_lo_u32 v4, v1, s8
	v_mul_lo_u32 v6, v1, s9
	v_lshrrev_b32_e32 v1, s23, v3
	s_add_i32 s25, s25, 4
	v_mul_lo_u32 v3, v1, s21
	s_add_u32 s28, s28, 32
	v_sub_u32_e32 v3, v5, v3
	s_addc_u32 s29, s29, 0
	v_mul_lo_u32 v5, v3, s10
	v_mul_lo_u32 v3, v3, s11
	s_cmp_eq_u32 s24, s25
	v_add3_u32 v0, v6, v0, v3
	v_add3_u32 v42, v4, v2, v5
	s_cbranch_scc0 .LBB15_21
; %bb.22:
	v_mov_b32_e32 v43, v0
	s_branch .LBB15_93
.LBB15_23:
                                        ; implicit-def: $vgpr0
                                        ; implicit-def: $vgpr44
	s_branch .LBB15_30
.LBB15_24:
                                        ; implicit-def: $vgpr0
                                        ; implicit-def: $vgpr42
	s_branch .LBB15_81
.LBB15_25:
                                        ; implicit-def: $vgpr0
                                        ; implicit-def: $vgpr42
	s_branch .LBB15_98
.LBB15_26:
	s_mov_b32 s7, s6
	v_pk_mov_b32 v[44:45], s[6:7], s[6:7] op_sel:[0,1]
                                        ; implicit-def: $vgpr0
	v_mov_b32_e32 v1, v41
	s_and_b32 s10, s33, 3
	s_cmp_eq_u32 s10, 0
	s_cbranch_scc1 .LBB15_15
.LBB15_27:
	s_lshl_b32 s7, s6, 3
	s_add_u32 s7, s7, s36
	s_addc_u32 s9, 0, s37
	s_add_u32 s8, s7, 0xc4
	s_addc_u32 s9, s9, 0
	s_mul_i32 s6, s6, 12
	s_add_u32 s6, s36, s6
	s_addc_u32 s7, 0, s37
.LBB15_28:                              ; =>This Inner Loop Header: Depth=1
	s_load_dwordx2 s[12:13], s[6:7], 0x4
	s_load_dword s11, s[6:7], 0xc
	s_load_dwordx2 s[14:15], s[8:9], 0x0
	s_add_u32 s6, s6, 12
	s_addc_u32 s7, s7, 0
	s_waitcnt lgkmcnt(0)
	v_mul_hi_u32 v3, s13, v1
	v_add_u32_e32 v3, v1, v3
	v_lshrrev_b32_e32 v3, s11, v3
	v_mul_lo_u32 v4, v3, s12
	v_mov_b32_e32 v0, v45
	s_add_u32 s8, s8, 8
	v_sub_u32_e32 v6, v1, v4
	v_mov_b32_e32 v1, v3
	s_addc_u32 s9, s9, 0
	s_add_i32 s10, s10, -1
	v_mad_u64_u32 v[4:5], s[12:13], v6, s15, v[0:1]
	v_mad_u64_u32 v[44:45], s[12:13], v6, s14, v[44:45]
	s_cmp_lg_u32 s10, 0
	v_mov_b32_e32 v45, v4
	s_cbranch_scc1 .LBB15_28
; %bb.29:
	v_mov_b32_e32 v0, v45
	s_cbranch_execnz .LBB15_32
.LBB15_30:
	s_load_dwordx4 s[8:11], s[36:37], 0x4
	s_load_dwordx2 s[6:7], s[36:37], 0xc4
	s_cmp_lt_u32 s64, 2
	s_waitcnt lgkmcnt(0)
	v_mul_hi_u32 v0, s9, v41
	v_add_u32_e32 v0, v41, v0
	v_lshrrev_b32_e32 v1, s10, v0
	v_mul_lo_u32 v0, v1, s8
	v_sub_u32_e32 v3, v41, v0
	v_mul_lo_u32 v0, v3, s7
	v_mul_lo_u32 v44, v3, s6
	s_cbranch_scc1 .LBB15_32
; %bb.31:
	s_load_dwordx4 s[8:11], s[36:37], 0x10
	s_load_dwordx2 s[6:7], s[36:37], 0xcc
	s_waitcnt lgkmcnt(0)
	v_mul_hi_u32 v3, s9, v1
	v_add_u32_e32 v3, v1, v3
	v_lshrrev_b32_e32 v3, s10, v3
	v_mul_lo_u32 v3, v3, s8
	v_sub_u32_e32 v1, v1, v3
	v_mad_u64_u32 v[44:45], s[8:9], v1, s6, v[44:45]
	v_mad_u64_u32 v[0:1], s[6:7], v1, s7, v[0:1]
.LBB15_32:
	s_and_b64 vcc, exec, s[4:5]
	v_add_u32_e32 v1, 0x80, v41
	s_cbranch_vccnz .LBB15_39
; %bb.33:
	s_mov_b32 s6, 0
	s_cmp_lg_u32 s64, 0
	v_mov_b32_e32 v42, 0
	v_mov_b32_e32 v46, 0
	s_cbranch_scc0 .LBB15_38
; %bb.34:
	s_min_u32 s33, s65, 15
	s_add_i32 s33, s33, 1
	s_cmp_eq_u32 s65, 2
	s_cbranch_scc1 .LBB15_40
; %bb.35:
	s_add_u32 s28, s36, 0xc4
	s_addc_u32 s29, s37, 0
	s_and_b32 s6, s33, 28
	s_mov_b32 s7, 0
	v_mov_b32_e32 v46, 0
	s_mov_b64 s[30:31], s[36:37]
	v_mov_b32_e32 v3, v1
	v_mov_b32_e32 v42, 0
.LBB15_36:                              ; =>This Inner Loop Header: Depth=1
	s_load_dwordx8 s[16:23], s[30:31], 0x4
	s_load_dwordx4 s[24:27], s[30:31], 0x24
	s_load_dwordx8 s[8:15], s[28:29], 0x0
	s_add_u32 s30, s30, 48
	s_addc_u32 s31, s31, 0
	s_waitcnt lgkmcnt(0)
	v_mul_hi_u32 v4, s17, v3
	v_add_u32_e32 v4, v3, v4
	v_lshrrev_b32_e32 v4, s18, v4
	v_mul_lo_u32 v5, v4, s16
	v_mul_hi_u32 v6, s20, v4
	v_sub_u32_e32 v3, v3, v5
	v_add_u32_e32 v5, v4, v6
	v_lshrrev_b32_e32 v5, s21, v5
	v_mul_lo_u32 v7, v5, s19
	v_mul_hi_u32 v8, s23, v5
	v_sub_u32_e32 v4, v4, v7
	v_add_u32_e32 v7, v5, v8
	v_mul_lo_u32 v6, v3, s9
	v_mul_lo_u32 v3, v3, s8
	;; [unrolled: 1-line block ×4, first 2 shown]
	v_lshrrev_b32_e32 v7, s24, v7
	v_add3_u32 v4, v3, v46, v4
	v_add3_u32 v6, v6, v42, v8
	v_mul_lo_u32 v3, v7, s22
	v_mul_hi_u32 v8, s26, v7
	v_sub_u32_e32 v3, v5, v3
	v_add_u32_e32 v5, v7, v8
	v_mul_lo_u32 v8, v3, s12
	v_mul_lo_u32 v9, v3, s13
	v_lshrrev_b32_e32 v3, s27, v5
	s_add_i32 s7, s7, 4
	v_mul_lo_u32 v5, v3, s25
	s_add_u32 s28, s28, 32
	v_sub_u32_e32 v5, v7, v5
	s_addc_u32 s29, s29, 0
	v_mul_lo_u32 v7, v5, s14
	v_mul_lo_u32 v5, v5, s15
	s_cmp_lg_u32 s6, s7
	v_add3_u32 v42, v9, v6, v5
	v_add3_u32 v46, v8, v4, v7
	s_cbranch_scc1 .LBB15_36
; %bb.37:
	v_mov_b32_e32 v47, v42
	s_and_b32 s10, s33, 3
	s_cmp_eq_u32 s10, 0
	s_cbranch_scc0 .LBB15_41
.LBB15_38:
	s_cbranch_execz .LBB15_44
	s_branch .LBB15_46
.LBB15_39:
                                        ; implicit-def: $vgpr42
                                        ; implicit-def: $vgpr46
	s_branch .LBB15_44
.LBB15_40:
	s_mov_b32 s7, s6
	v_pk_mov_b32 v[46:47], s[6:7], s[6:7] op_sel:[0,1]
                                        ; implicit-def: $vgpr42
	v_mov_b32_e32 v3, v1
	s_and_b32 s10, s33, 3
	s_cmp_eq_u32 s10, 0
	s_cbranch_scc1 .LBB15_38
.LBB15_41:
	s_lshl_b32 s7, s6, 3
	s_add_u32 s7, s7, s36
	s_addc_u32 s9, 0, s37
	s_add_u32 s8, s7, 0xc4
	s_addc_u32 s9, s9, 0
	s_mul_i32 s6, s6, 12
	s_add_u32 s6, s36, s6
	s_addc_u32 s7, 0, s37
.LBB15_42:                              ; =>This Inner Loop Header: Depth=1
	s_load_dwordx2 s[12:13], s[6:7], 0x4
	s_load_dword s11, s[6:7], 0xc
	s_load_dwordx2 s[14:15], s[8:9], 0x0
	s_add_u32 s6, s6, 12
	s_addc_u32 s7, s7, 0
	s_waitcnt lgkmcnt(0)
	v_mul_hi_u32 v5, s13, v3
	v_add_u32_e32 v5, v3, v5
	v_lshrrev_b32_e32 v5, s11, v5
	v_mul_lo_u32 v6, v5, s12
	v_mov_b32_e32 v4, v47
	s_add_u32 s8, s8, 8
	v_sub_u32_e32 v6, v3, v6
	s_addc_u32 s9, s9, 0
	s_add_i32 s10, s10, -1
	v_mov_b32_e32 v3, v5
	v_mad_u64_u32 v[4:5], s[12:13], v6, s15, v[4:5]
	v_mad_u64_u32 v[46:47], s[12:13], v6, s14, v[46:47]
	s_cmp_lg_u32 s10, 0
	v_mov_b32_e32 v47, v4
	s_cbranch_scc1 .LBB15_42
; %bb.43:
	v_mov_b32_e32 v42, v47
	s_cbranch_execnz .LBB15_46
.LBB15_44:
	s_load_dwordx4 s[8:11], s[36:37], 0x4
	s_load_dwordx2 s[6:7], s[36:37], 0xc4
	s_cmp_lt_u32 s64, 2
	s_waitcnt lgkmcnt(0)
	v_mul_hi_u32 v3, s9, v1
	v_add_u32_e32 v3, v1, v3
	v_lshrrev_b32_e32 v3, s10, v3
	v_mul_lo_u32 v4, v3, s8
	v_sub_u32_e32 v1, v1, v4
	v_mul_lo_u32 v42, v1, s7
	v_mul_lo_u32 v46, v1, s6
	s_cbranch_scc1 .LBB15_46
; %bb.45:
	s_load_dwordx4 s[8:11], s[36:37], 0x10
	s_load_dwordx2 s[6:7], s[36:37], 0xcc
	s_waitcnt lgkmcnt(0)
	v_mul_hi_u32 v1, s9, v3
	v_add_u32_e32 v1, v3, v1
	v_lshrrev_b32_e32 v1, s10, v1
	v_mul_lo_u32 v1, v1, s8
	v_sub_u32_e32 v1, v3, v1
	v_mad_u64_u32 v[46:47], s[8:9], v1, s6, v[46:47]
	v_mad_u64_u32 v[42:43], s[6:7], v1, s7, v[42:43]
.LBB15_46:
	s_and_b64 vcc, exec, s[4:5]
	v_add_u32_e32 v1, 0x100, v41
	s_cbranch_vccnz .LBB15_53
; %bb.47:
	s_mov_b32 s6, 0
	s_cmp_lg_u32 s64, 0
	v_mov_b32_e32 v58, 0
	v_mov_b32_e32 v56, 0
	s_cbranch_scc0 .LBB15_52
; %bb.48:
	s_min_u32 s33, s65, 15
	s_add_i32 s33, s33, 1
	s_cmp_eq_u32 s65, 2
	s_cbranch_scc1 .LBB15_54
; %bb.49:
	s_add_u32 s28, s36, 0xc4
	s_addc_u32 s29, s37, 0
	s_and_b32 s6, s33, 28
	s_mov_b32 s7, 0
	v_mov_b32_e32 v56, 0
	s_mov_b64 s[30:31], s[36:37]
	v_mov_b32_e32 v3, v1
	v_mov_b32_e32 v58, 0
.LBB15_50:                              ; =>This Inner Loop Header: Depth=1
	s_load_dwordx8 s[16:23], s[30:31], 0x4
	s_load_dwordx4 s[24:27], s[30:31], 0x24
	s_load_dwordx8 s[8:15], s[28:29], 0x0
	s_add_u32 s30, s30, 48
	s_addc_u32 s31, s31, 0
	s_waitcnt lgkmcnt(0)
	v_mul_hi_u32 v4, s17, v3
	v_add_u32_e32 v4, v3, v4
	v_lshrrev_b32_e32 v4, s18, v4
	v_mul_lo_u32 v5, v4, s16
	v_mul_hi_u32 v6, s20, v4
	v_sub_u32_e32 v3, v3, v5
	v_add_u32_e32 v5, v4, v6
	v_lshrrev_b32_e32 v5, s21, v5
	v_mul_lo_u32 v7, v5, s19
	v_mul_hi_u32 v8, s23, v5
	v_sub_u32_e32 v4, v4, v7
	v_add_u32_e32 v7, v5, v8
	v_mul_lo_u32 v6, v3, s9
	v_mul_lo_u32 v3, v3, s8
	;; [unrolled: 1-line block ×4, first 2 shown]
	v_lshrrev_b32_e32 v7, s24, v7
	v_add3_u32 v4, v3, v56, v4
	v_add3_u32 v6, v6, v58, v8
	v_mul_lo_u32 v3, v7, s22
	v_mul_hi_u32 v8, s26, v7
	v_sub_u32_e32 v3, v5, v3
	v_add_u32_e32 v5, v7, v8
	v_mul_lo_u32 v8, v3, s12
	v_mul_lo_u32 v9, v3, s13
	v_lshrrev_b32_e32 v3, s27, v5
	s_add_i32 s7, s7, 4
	v_mul_lo_u32 v5, v3, s25
	s_add_u32 s28, s28, 32
	v_sub_u32_e32 v5, v7, v5
	s_addc_u32 s29, s29, 0
	v_mul_lo_u32 v7, v5, s14
	v_mul_lo_u32 v5, v5, s15
	s_cmp_lg_u32 s6, s7
	v_add3_u32 v58, v9, v6, v5
	v_add3_u32 v56, v8, v4, v7
	s_cbranch_scc1 .LBB15_50
; %bb.51:
	v_mov_b32_e32 v57, v58
	s_and_b32 s10, s33, 3
	s_cmp_eq_u32 s10, 0
	s_cbranch_scc0 .LBB15_55
.LBB15_52:
	s_cbranch_execz .LBB15_58
	s_branch .LBB15_60
.LBB15_53:
                                        ; implicit-def: $vgpr58
                                        ; implicit-def: $vgpr56
	s_branch .LBB15_58
.LBB15_54:
	s_mov_b32 s7, s6
	v_pk_mov_b32 v[56:57], s[6:7], s[6:7] op_sel:[0,1]
                                        ; implicit-def: $vgpr58
	v_mov_b32_e32 v3, v1
	s_and_b32 s10, s33, 3
	s_cmp_eq_u32 s10, 0
	s_cbranch_scc1 .LBB15_52
.LBB15_55:
	s_lshl_b32 s7, s6, 3
	s_add_u32 s7, s7, s36
	s_addc_u32 s9, 0, s37
	s_add_u32 s8, s7, 0xc4
	s_addc_u32 s9, s9, 0
	s_mul_i32 s6, s6, 12
	s_add_u32 s6, s36, s6
	s_addc_u32 s7, 0, s37
.LBB15_56:                              ; =>This Inner Loop Header: Depth=1
	s_load_dwordx2 s[12:13], s[6:7], 0x4
	s_load_dword s11, s[6:7], 0xc
	s_load_dwordx2 s[14:15], s[8:9], 0x0
	s_add_u32 s6, s6, 12
	s_addc_u32 s7, s7, 0
	s_waitcnt lgkmcnt(0)
	v_mul_hi_u32 v5, s13, v3
	v_add_u32_e32 v5, v3, v5
	v_lshrrev_b32_e32 v5, s11, v5
	v_mul_lo_u32 v6, v5, s12
	v_mov_b32_e32 v4, v57
	s_add_u32 s8, s8, 8
	v_sub_u32_e32 v6, v3, v6
	s_addc_u32 s9, s9, 0
	s_add_i32 s10, s10, -1
	v_mov_b32_e32 v3, v5
	v_mad_u64_u32 v[4:5], s[12:13], v6, s15, v[4:5]
	v_mad_u64_u32 v[56:57], s[12:13], v6, s14, v[56:57]
	s_cmp_lg_u32 s10, 0
	v_mov_b32_e32 v57, v4
	s_cbranch_scc1 .LBB15_56
; %bb.57:
	v_mov_b32_e32 v58, v57
	s_cbranch_execnz .LBB15_60
.LBB15_58:
	s_load_dwordx4 s[8:11], s[36:37], 0x4
	s_load_dwordx2 s[6:7], s[36:37], 0xc4
	s_cmp_lt_u32 s64, 2
	s_waitcnt lgkmcnt(0)
	v_mul_hi_u32 v3, s9, v1
	v_add_u32_e32 v3, v1, v3
	v_lshrrev_b32_e32 v3, s10, v3
	v_mul_lo_u32 v4, v3, s8
	v_sub_u32_e32 v1, v1, v4
	v_mul_lo_u32 v58, v1, s7
	v_mul_lo_u32 v56, v1, s6
	s_cbranch_scc1 .LBB15_60
; %bb.59:
	s_load_dwordx4 s[8:11], s[36:37], 0x10
	s_load_dwordx2 s[6:7], s[36:37], 0xcc
	s_waitcnt lgkmcnt(0)
	v_mul_hi_u32 v1, s9, v3
	v_add_u32_e32 v1, v3, v1
	v_lshrrev_b32_e32 v1, s10, v1
	v_mul_lo_u32 v1, v1, s8
	v_sub_u32_e32 v1, v3, v1
	v_mad_u64_u32 v[56:57], s[8:9], v1, s6, v[56:57]
	v_mad_u64_u32 v[58:59], s[6:7], v1, s7, v[58:59]
.LBB15_60:
	s_and_b64 vcc, exec, s[4:5]
	s_cbranch_vccnz .LBB15_67
; %bb.61:
	s_mov_b32 s24, 0
	s_cmp_lg_u32 s64, 0
	v_mov_b32_e32 v62, 0
	v_mov_b32_e32 v60, 0
	s_cbranch_scc0 .LBB15_66
; %bb.62:
	s_min_u32 s30, s65, 15
	s_add_i32 s30, s30, 1
	s_cmp_eq_u32 s65, 2
	s_cbranch_scc1 .LBB15_68
; %bb.63:
	s_add_u32 s26, s36, 0xc4
	s_addc_u32 s27, s37, 0
	s_and_b32 s24, s30, 28
	s_mov_b32 s25, 0
	v_mov_b32_e32 v60, 0
	s_mov_b64 s[28:29], s[36:37]
	v_mov_b32_e32 v1, v2
	v_mov_b32_e32 v62, 0
.LBB15_64:                              ; =>This Inner Loop Header: Depth=1
	s_load_dwordx8 s[12:19], s[28:29], 0x4
	s_load_dwordx4 s[20:23], s[28:29], 0x24
	s_load_dwordx8 s[4:11], s[26:27], 0x0
	s_add_u32 s28, s28, 48
	s_addc_u32 s29, s29, 0
	s_waitcnt lgkmcnt(0)
	v_mul_hi_u32 v3, s13, v1
	v_add_u32_e32 v3, v1, v3
	v_lshrrev_b32_e32 v3, s14, v3
	v_mul_lo_u32 v4, v3, s12
	v_mul_hi_u32 v5, s16, v3
	v_sub_u32_e32 v1, v1, v4
	v_add_u32_e32 v4, v3, v5
	v_lshrrev_b32_e32 v4, s17, v4
	v_mul_lo_u32 v6, v4, s15
	v_mul_hi_u32 v7, s19, v4
	v_sub_u32_e32 v3, v3, v6
	v_add_u32_e32 v6, v4, v7
	v_mul_lo_u32 v5, v1, s5
	v_mul_lo_u32 v1, v1, s4
	;; [unrolled: 1-line block ×4, first 2 shown]
	v_lshrrev_b32_e32 v6, s20, v6
	v_add3_u32 v3, v1, v60, v3
	v_add3_u32 v5, v5, v62, v7
	v_mul_lo_u32 v1, v6, s18
	v_mul_hi_u32 v7, s22, v6
	v_sub_u32_e32 v1, v4, v1
	v_add_u32_e32 v4, v6, v7
	v_mul_lo_u32 v7, v1, s8
	v_mul_lo_u32 v8, v1, s9
	v_lshrrev_b32_e32 v1, s23, v4
	s_add_i32 s25, s25, 4
	v_mul_lo_u32 v4, v1, s21
	s_add_u32 s26, s26, 32
	v_sub_u32_e32 v4, v6, v4
	s_addc_u32 s27, s27, 0
	v_mul_lo_u32 v6, v4, s10
	v_mul_lo_u32 v4, v4, s11
	s_cmp_lg_u32 s24, s25
	v_add3_u32 v62, v8, v5, v4
	v_add3_u32 v60, v7, v3, v6
	s_cbranch_scc1 .LBB15_64
; %bb.65:
	v_mov_b32_e32 v61, v62
	s_and_b32 s8, s30, 3
	s_cmp_eq_u32 s8, 0
	s_cbranch_scc0 .LBB15_69
.LBB15_66:
	s_cbranch_execz .LBB15_72
	s_branch .LBB15_74
.LBB15_67:
                                        ; implicit-def: $vgpr62
                                        ; implicit-def: $vgpr60
	s_branch .LBB15_72
.LBB15_68:
	s_mov_b32 s25, s24
	v_pk_mov_b32 v[60:61], s[24:25], s[24:25] op_sel:[0,1]
                                        ; implicit-def: $vgpr62
	v_mov_b32_e32 v1, v2
	s_and_b32 s8, s30, 3
	s_cmp_eq_u32 s8, 0
	s_cbranch_scc1 .LBB15_66
.LBB15_69:
	s_lshl_b32 s4, s24, 3
	s_add_u32 s4, s4, s36
	s_addc_u32 s5, 0, s37
	s_add_u32 s4, s4, 0xc4
	s_addc_u32 s5, s5, 0
	s_mul_i32 s6, s24, 12
	s_add_u32 s6, s36, s6
	s_addc_u32 s7, 0, s37
.LBB15_70:                              ; =>This Inner Loop Header: Depth=1
	s_load_dwordx2 s[10:11], s[6:7], 0x4
	s_load_dword s9, s[6:7], 0xc
	s_load_dwordx2 s[12:13], s[4:5], 0x0
	s_add_u32 s6, s6, 12
	s_addc_u32 s7, s7, 0
	s_waitcnt lgkmcnt(0)
	v_mul_hi_u32 v3, s11, v1
	v_add_u32_e32 v3, v1, v3
	v_lshrrev_b32_e32 v3, s9, v3
	v_mul_lo_u32 v5, v3, s10
	v_mov_b32_e32 v4, v61
	s_add_u32 s4, s4, 8
	v_sub_u32_e32 v6, v1, v5
	s_addc_u32 s5, s5, 0
	s_add_i32 s8, s8, -1
	v_mad_u64_u32 v[4:5], s[10:11], v6, s13, v[4:5]
	v_mad_u64_u32 v[60:61], s[10:11], v6, s12, v[60:61]
	s_cmp_lg_u32 s8, 0
	v_mov_b32_e32 v1, v3
	v_mov_b32_e32 v61, v4
	s_cbranch_scc1 .LBB15_70
; %bb.71:
	v_mov_b32_e32 v62, v61
	s_cbranch_execnz .LBB15_74
.LBB15_72:
	s_load_dwordx4 s[4:7], s[36:37], 0x4
	s_load_dwordx2 s[8:9], s[36:37], 0xc4
	s_cmp_lt_u32 s64, 2
	s_waitcnt lgkmcnt(0)
	v_mul_hi_u32 v1, s5, v2
	v_add_u32_e32 v1, v2, v1
	v_lshrrev_b32_e32 v1, s6, v1
	v_mul_lo_u32 v3, v1, s4
	v_sub_u32_e32 v2, v2, v3
	v_mul_lo_u32 v62, v2, s9
	v_mul_lo_u32 v60, v2, s8
	s_cbranch_scc1 .LBB15_74
; %bb.73:
	s_load_dwordx4 s[4:7], s[36:37], 0x10
	s_load_dwordx2 s[8:9], s[36:37], 0xcc
	s_waitcnt lgkmcnt(0)
	v_mul_hi_u32 v2, s5, v1
	v_add_u32_e32 v2, v1, v2
	v_lshrrev_b32_e32 v2, s6, v2
	v_mul_lo_u32 v2, v2, s4
	v_sub_u32_e32 v1, v1, v2
	v_mad_u64_u32 v[60:61], s[4:5], v1, s8, v[60:61]
	v_mad_u64_u32 v[62:63], s[4:5], v1, s9, v[62:63]
.LBB15_74:
	s_load_dwordx4 s[36:39], s[36:37], 0x148
	s_waitcnt lgkmcnt(0)
	s_getpc_b64 s[40:41]
	s_add_u32 s40, s40, _Z17bessel_j1_forwardIfET_S0_@rel32@lo+4
	s_addc_u32 s41, s41, _Z17bessel_j1_forwardIfET_S0_@rel32@hi+12
	global_load_dword v0, v0, s[38:39]
	s_swappc_b64 s[30:31], s[40:41]
	v_mov_b32_e32 v41, v0
	global_load_dword v0, v42, s[38:39]
	s_swappc_b64 s[30:31], s[40:41]
	v_mov_b32_e32 v42, v0
	;; [unrolled: 3-line block ×3, first 2 shown]
	global_load_dword v0, v62, s[38:39]
	s_swappc_b64 s[30:31], s[40:41]
	global_store_dword v44, v41, s[36:37]
	global_store_dword v46, v42, s[36:37]
	;; [unrolled: 1-line block ×4, first 2 shown]
	s_endpgm
.LBB15_75:
	s_mov_b32 s25, s24
	v_pk_mov_b32 v[42:43], s[24:25], s[24:25] op_sel:[0,1]
                                        ; implicit-def: $vgpr0
	v_mov_b32_e32 v1, v41
.LBB15_76:
	s_and_b32 s8, s30, 3
	s_cmp_eq_u32 s8, 0
	s_cbranch_scc1 .LBB15_80
; %bb.77:
	s_lshl_b32 s4, s24, 3
	s_add_u32 s4, s4, s36
	s_addc_u32 s5, s37, 0
	s_add_u32 s4, s4, 0xc4
	s_addc_u32 s5, s5, 0
	s_mul_i32 s6, s24, 12
	s_add_u32 s6, s36, s6
	s_addc_u32 s7, s37, 0
.LBB15_78:                              ; =>This Inner Loop Header: Depth=1
	s_load_dwordx2 s[10:11], s[6:7], 0x4
	s_load_dword s9, s[6:7], 0xc
	s_load_dwordx2 s[12:13], s[4:5], 0x0
	s_add_u32 s6, s6, 12
	s_addc_u32 s7, s7, 0
	s_waitcnt lgkmcnt(0)
	v_mul_hi_u32 v2, s11, v1
	v_add_u32_e32 v2, v1, v2
	v_lshrrev_b32_e32 v2, s9, v2
	v_mul_lo_u32 v3, v2, s10
	v_mov_b32_e32 v0, v43
	s_add_u32 s4, s4, 8
	v_sub_u32_e32 v4, v1, v3
	v_mov_b32_e32 v1, v2
	s_addc_u32 s5, s5, 0
	s_add_i32 s8, s8, -1
	v_mad_u64_u32 v[2:3], s[10:11], v4, s13, v[0:1]
	v_mad_u64_u32 v[42:43], s[10:11], v4, s12, v[42:43]
	s_cmp_lg_u32 s8, 0
	v_mov_b32_e32 v43, v2
	s_cbranch_scc1 .LBB15_78
; %bb.79:
	v_mov_b32_e32 v0, v43
.LBB15_80:
	s_cbranch_execnz .LBB15_83
.LBB15_81:
	s_waitcnt lgkmcnt(0)
	v_mul_hi_u32 v0, s49, v41
	v_add_u32_e32 v0, v41, v0
	v_lshrrev_b32_e32 v1, s50, v0
	v_mul_lo_u32 v0, v1, s48
	v_sub_u32_e32 v2, v41, v0
	v_mul_lo_u32 v0, v2, s45
	s_andn2_b64 vcc, exec, s[56:57]
	v_mul_lo_u32 v42, v2, s44
	s_cbranch_vccnz .LBB15_83
; %bb.82:
	v_mul_hi_u32 v2, s54, v1
	v_add_u32_e32 v2, v1, v2
	v_lshrrev_b32_e32 v2, s55, v2
	v_mul_lo_u32 v2, v2, s51
	v_sub_u32_e32 v1, v1, v2
	v_mad_u64_u32 v[42:43], s[4:5], v1, s46, v[42:43]
	v_mad_u64_u32 v[0:1], s[4:5], v1, s47, v[0:1]
.LBB15_83:
	s_waitcnt lgkmcnt(0)
	global_load_dword v0, v0, s[42:43]
	s_getpc_b64 s[4:5]
	s_add_u32 s4, s4, _Z17bessel_j1_forwardIfET_S0_@rel32@lo+4
	s_addc_u32 s5, s5, _Z17bessel_j1_forwardIfET_S0_@rel32@hi+12
	s_swappc_b64 s[30:31], s[4:5]
	v_add_u32_e32 v41, 0x80, v41
	global_store_dword v42, v0, s[40:41]
	s_or_b64 exec, exec, s[62:63]
	v_cmp_gt_i32_e32 vcc, s66, v41
	s_and_saveexec_b64 s[62:63], vcc
	s_cbranch_execnz .LBB15_17
.LBB15_84:
	s_or_b64 exec, exec, s[62:63]
	v_cmp_gt_i32_e32 vcc, s66, v41
	s_and_saveexec_b64 s[62:63], vcc
	s_cbranch_execz .LBB15_101
.LBB15_85:
	s_andn2_b64 vcc, exec, s[38:39]
	s_cbranch_vccnz .LBB15_91
; %bb.86:
	s_mov_b32 s24, 0
	s_andn2_b64 vcc, exec, s[60:61]
	v_mov_b32_e32 v0, 0
	v_mov_b32_e32 v42, 0
	s_cbranch_vccnz .LBB15_109
; %bb.87:
	s_add_i32 s30, s67, 1
	s_cmp_eq_u32 s65, 2
	s_cbranch_scc1 .LBB15_104
; %bb.88:
	s_and_b32 s24, s30, 28
	s_mov_b32 s25, 0
	v_mov_b32_e32 v42, 0
	s_mov_b64 s[26:27], s[36:37]
	s_mov_b64 s[28:29], s[58:59]
	v_mov_b32_e32 v1, v41
	v_mov_b32_e32 v0, 0
.LBB15_89:                              ; =>This Inner Loop Header: Depth=1
	s_load_dwordx8 s[12:19], s[26:27], 0x4
	s_load_dwordx4 s[20:23], s[26:27], 0x24
	s_load_dwordx8 s[4:11], s[28:29], 0x0
	s_add_u32 s26, s26, 48
	s_addc_u32 s27, s27, 0
	s_waitcnt lgkmcnt(0)
	v_mul_hi_u32 v2, s13, v1
	v_add_u32_e32 v2, v1, v2
	v_lshrrev_b32_e32 v2, s14, v2
	v_mul_lo_u32 v3, v2, s12
	v_mul_hi_u32 v4, s16, v2
	v_sub_u32_e32 v1, v1, v3
	v_add_u32_e32 v3, v2, v4
	v_lshrrev_b32_e32 v3, s17, v3
	v_mul_lo_u32 v5, v3, s15
	v_mul_hi_u32 v6, s19, v3
	v_sub_u32_e32 v2, v2, v5
	v_add_u32_e32 v5, v3, v6
	v_mul_lo_u32 v4, v1, s5
	v_mul_lo_u32 v1, v1, s4
	;; [unrolled: 1-line block ×4, first 2 shown]
	v_lshrrev_b32_e32 v5, s20, v5
	v_add3_u32 v2, v1, v42, v2
	v_add3_u32 v0, v4, v0, v6
	v_mul_lo_u32 v1, v5, s18
	v_mul_hi_u32 v4, s22, v5
	v_sub_u32_e32 v1, v3, v1
	v_add_u32_e32 v3, v5, v4
	v_mul_lo_u32 v4, v1, s8
	v_mul_lo_u32 v6, v1, s9
	v_lshrrev_b32_e32 v1, s23, v3
	s_add_i32 s25, s25, 4
	v_mul_lo_u32 v3, v1, s21
	s_add_u32 s28, s28, 32
	v_sub_u32_e32 v3, v5, v3
	s_addc_u32 s29, s29, 0
	v_mul_lo_u32 v5, v3, s10
	v_mul_lo_u32 v3, v3, s11
	s_cmp_eq_u32 s24, s25
	v_add3_u32 v0, v6, v0, v3
	v_add3_u32 v42, v4, v2, v5
	s_cbranch_scc0 .LBB15_89
; %bb.90:
	v_mov_b32_e32 v43, v0
	s_branch .LBB15_105
.LBB15_91:
                                        ; implicit-def: $vgpr0
                                        ; implicit-def: $vgpr42
	s_branch .LBB15_110
.LBB15_92:
	s_mov_b32 s25, s24
	v_pk_mov_b32 v[42:43], s[24:25], s[24:25] op_sel:[0,1]
                                        ; implicit-def: $vgpr0
	v_mov_b32_e32 v1, v41
.LBB15_93:
	s_and_b32 s8, s30, 3
	s_cmp_eq_u32 s8, 0
	s_cbranch_scc1 .LBB15_97
; %bb.94:
	s_lshl_b32 s4, s24, 3
	s_add_u32 s4, s4, s36
	s_addc_u32 s5, s37, 0
	s_add_u32 s4, s4, 0xc4
	s_addc_u32 s5, s5, 0
	s_mul_i32 s6, s24, 12
	s_add_u32 s6, s36, s6
	s_addc_u32 s7, s37, 0
.LBB15_95:                              ; =>This Inner Loop Header: Depth=1
	s_load_dwordx2 s[10:11], s[6:7], 0x4
	s_load_dword s9, s[6:7], 0xc
	s_load_dwordx2 s[12:13], s[4:5], 0x0
	s_add_u32 s6, s6, 12
	s_addc_u32 s7, s7, 0
	s_waitcnt lgkmcnt(0)
	v_mul_hi_u32 v2, s11, v1
	v_add_u32_e32 v2, v1, v2
	v_lshrrev_b32_e32 v2, s9, v2
	v_mul_lo_u32 v3, v2, s10
	v_mov_b32_e32 v0, v43
	s_add_u32 s4, s4, 8
	v_sub_u32_e32 v4, v1, v3
	v_mov_b32_e32 v1, v2
	s_addc_u32 s5, s5, 0
	s_add_i32 s8, s8, -1
	v_mad_u64_u32 v[2:3], s[10:11], v4, s13, v[0:1]
	v_mad_u64_u32 v[42:43], s[10:11], v4, s12, v[42:43]
	s_cmp_lg_u32 s8, 0
	v_mov_b32_e32 v43, v2
	s_cbranch_scc1 .LBB15_95
; %bb.96:
	v_mov_b32_e32 v0, v43
.LBB15_97:
	s_cbranch_execnz .LBB15_100
.LBB15_98:
	s_waitcnt lgkmcnt(0)
	v_mul_hi_u32 v0, s49, v41
	v_add_u32_e32 v0, v41, v0
	v_lshrrev_b32_e32 v1, s50, v0
	v_mul_lo_u32 v0, v1, s48
	v_sub_u32_e32 v2, v41, v0
	v_mul_lo_u32 v0, v2, s45
	s_andn2_b64 vcc, exec, s[56:57]
	v_mul_lo_u32 v42, v2, s44
	s_cbranch_vccnz .LBB15_100
; %bb.99:
	v_mul_hi_u32 v2, s54, v1
	v_add_u32_e32 v2, v1, v2
	v_lshrrev_b32_e32 v2, s55, v2
	v_mul_lo_u32 v2, v2, s51
	v_sub_u32_e32 v1, v1, v2
	v_mad_u64_u32 v[42:43], s[4:5], v1, s46, v[42:43]
	v_mad_u64_u32 v[0:1], s[4:5], v1, s47, v[0:1]
.LBB15_100:
	s_waitcnt lgkmcnt(0)
	global_load_dword v0, v0, s[42:43]
	s_getpc_b64 s[4:5]
	s_add_u32 s4, s4, _Z17bessel_j1_forwardIfET_S0_@rel32@lo+4
	s_addc_u32 s5, s5, _Z17bessel_j1_forwardIfET_S0_@rel32@hi+12
	s_swappc_b64 s[30:31], s[4:5]
	v_add_u32_e32 v41, 0x80, v41
	global_store_dword v42, v0, s[40:41]
	s_or_b64 exec, exec, s[62:63]
	v_cmp_gt_i32_e32 vcc, s66, v41
	s_and_saveexec_b64 s[62:63], vcc
	s_cbranch_execnz .LBB15_85
.LBB15_101:
	s_or_b64 exec, exec, s[62:63]
	v_cmp_gt_i32_e32 vcc, s66, v41
	s_and_saveexec_b64 s[62:63], vcc
	s_cbranch_execnz .LBB15_113
.LBB15_102:
	s_or_b64 exec, exec, s[62:63]
                                        ; implicit-def: $vgpr2
                                        ; implicit-def: $vgpr41
	s_andn2_saveexec_b64 s[4:5], s[52:53]
	s_cbranch_execnz .LBB15_9
.LBB15_103:
	s_endpgm
.LBB15_104:
	s_mov_b32 s25, s24
	v_pk_mov_b32 v[42:43], s[24:25], s[24:25] op_sel:[0,1]
                                        ; implicit-def: $vgpr0
	v_mov_b32_e32 v1, v41
.LBB15_105:
	s_and_b32 s8, s30, 3
	s_cmp_eq_u32 s8, 0
	s_cbranch_scc1 .LBB15_109
; %bb.106:
	s_lshl_b32 s4, s24, 3
	s_add_u32 s4, s4, s36
	s_addc_u32 s5, s37, 0
	s_add_u32 s4, s4, 0xc4
	s_addc_u32 s5, s5, 0
	s_mul_i32 s6, s24, 12
	s_add_u32 s6, s36, s6
	s_addc_u32 s7, s37, 0
.LBB15_107:                             ; =>This Inner Loop Header: Depth=1
	s_load_dwordx2 s[10:11], s[6:7], 0x4
	s_load_dword s9, s[6:7], 0xc
	s_load_dwordx2 s[12:13], s[4:5], 0x0
	s_add_u32 s6, s6, 12
	s_addc_u32 s7, s7, 0
	s_waitcnt lgkmcnt(0)
	v_mul_hi_u32 v2, s11, v1
	v_add_u32_e32 v2, v1, v2
	v_lshrrev_b32_e32 v2, s9, v2
	v_mul_lo_u32 v3, v2, s10
	v_mov_b32_e32 v0, v43
	s_add_u32 s4, s4, 8
	v_sub_u32_e32 v4, v1, v3
	v_mov_b32_e32 v1, v2
	s_addc_u32 s5, s5, 0
	s_add_i32 s8, s8, -1
	v_mad_u64_u32 v[2:3], s[10:11], v4, s13, v[0:1]
	v_mad_u64_u32 v[42:43], s[10:11], v4, s12, v[42:43]
	s_cmp_lg_u32 s8, 0
	v_mov_b32_e32 v43, v2
	s_cbranch_scc1 .LBB15_107
; %bb.108:
	v_mov_b32_e32 v0, v43
.LBB15_109:
	s_cbranch_execnz .LBB15_112
.LBB15_110:
	s_waitcnt lgkmcnt(0)
	v_mul_hi_u32 v0, s49, v41
	v_add_u32_e32 v0, v41, v0
	v_lshrrev_b32_e32 v1, s50, v0
	v_mul_lo_u32 v0, v1, s48
	v_sub_u32_e32 v2, v41, v0
	v_mul_lo_u32 v0, v2, s45
	s_andn2_b64 vcc, exec, s[56:57]
	v_mul_lo_u32 v42, v2, s44
	s_cbranch_vccnz .LBB15_112
; %bb.111:
	v_mul_hi_u32 v2, s54, v1
	v_add_u32_e32 v2, v1, v2
	v_lshrrev_b32_e32 v2, s55, v2
	v_mul_lo_u32 v2, v2, s51
	v_sub_u32_e32 v1, v1, v2
	v_mad_u64_u32 v[42:43], s[4:5], v1, s46, v[42:43]
	v_mad_u64_u32 v[0:1], s[4:5], v1, s47, v[0:1]
.LBB15_112:
	s_waitcnt lgkmcnt(0)
	global_load_dword v0, v0, s[42:43]
	s_getpc_b64 s[4:5]
	s_add_u32 s4, s4, _Z17bessel_j1_forwardIfET_S0_@rel32@lo+4
	s_addc_u32 s5, s5, _Z17bessel_j1_forwardIfET_S0_@rel32@hi+12
	s_swappc_b64 s[30:31], s[4:5]
	v_add_u32_e32 v41, 0x80, v41
	global_store_dword v42, v0, s[40:41]
	s_or_b64 exec, exec, s[62:63]
	v_cmp_gt_i32_e32 vcc, s66, v41
	s_and_saveexec_b64 s[62:63], vcc
	s_cbranch_execz .LBB15_102
.LBB15_113:
	s_andn2_b64 vcc, exec, s[38:39]
	s_cbranch_vccnz .LBB15_119
; %bb.114:
	s_mov_b32 s24, 0
	s_andn2_b64 vcc, exec, s[60:61]
	v_mov_b32_e32 v0, 0
	v_mov_b32_e32 v42, 0
	s_cbranch_vccnz .LBB15_125
; %bb.115:
	s_add_i32 s67, s67, 1
	s_cmp_eq_u32 s65, 2
	s_cbranch_scc1 .LBB15_120
; %bb.116:
	s_and_b32 s24, s67, 28
	s_mov_b32 s25, 0
	v_mov_b32_e32 v42, 0
	s_mov_b64 s[26:27], s[36:37]
	v_mov_b32_e32 v1, v41
	v_mov_b32_e32 v0, 0
.LBB15_117:                             ; =>This Inner Loop Header: Depth=1
	s_load_dwordx8 s[12:19], s[26:27], 0x4
	s_load_dwordx4 s[20:23], s[26:27], 0x24
	s_load_dwordx8 s[4:11], s[58:59], 0x0
	s_add_u32 s26, s26, 48
	s_addc_u32 s27, s27, 0
	s_waitcnt lgkmcnt(0)
	v_mul_hi_u32 v2, s13, v1
	v_add_u32_e32 v2, v1, v2
	v_lshrrev_b32_e32 v2, s14, v2
	v_mul_lo_u32 v3, v2, s12
	v_mul_hi_u32 v4, s16, v2
	v_sub_u32_e32 v1, v1, v3
	v_add_u32_e32 v3, v2, v4
	v_lshrrev_b32_e32 v3, s17, v3
	v_mul_lo_u32 v5, v3, s15
	v_mul_hi_u32 v6, s19, v3
	v_sub_u32_e32 v2, v2, v5
	v_add_u32_e32 v5, v3, v6
	v_mul_lo_u32 v4, v1, s5
	v_mul_lo_u32 v1, v1, s4
	;; [unrolled: 1-line block ×4, first 2 shown]
	v_lshrrev_b32_e32 v5, s20, v5
	v_add3_u32 v2, v1, v42, v2
	v_add3_u32 v0, v4, v0, v6
	v_mul_lo_u32 v1, v5, s18
	v_mul_hi_u32 v4, s22, v5
	v_sub_u32_e32 v1, v3, v1
	v_add_u32_e32 v3, v5, v4
	v_mul_lo_u32 v4, v1, s8
	v_mul_lo_u32 v6, v1, s9
	v_lshrrev_b32_e32 v1, s23, v3
	s_add_i32 s25, s25, 4
	v_mul_lo_u32 v3, v1, s21
	s_add_u32 s58, s58, 32
	v_sub_u32_e32 v3, v5, v3
	s_addc_u32 s59, s59, 0
	v_mul_lo_u32 v5, v3, s10
	v_mul_lo_u32 v3, v3, s11
	s_cmp_eq_u32 s24, s25
	v_add3_u32 v0, v6, v0, v3
	v_add3_u32 v42, v4, v2, v5
	s_cbranch_scc0 .LBB15_117
; %bb.118:
	v_mov_b32_e32 v43, v0
	s_branch .LBB15_121
.LBB15_119:
                                        ; implicit-def: $vgpr0
                                        ; implicit-def: $vgpr42
	s_branch .LBB15_126
.LBB15_120:
	s_mov_b32 s25, s24
	v_pk_mov_b32 v[42:43], s[24:25], s[24:25] op_sel:[0,1]
                                        ; implicit-def: $vgpr0
	v_mov_b32_e32 v1, v41
.LBB15_121:
	s_and_b32 s8, s67, 3
	s_cmp_eq_u32 s8, 0
	s_cbranch_scc1 .LBB15_125
; %bb.122:
	s_lshl_b32 s4, s24, 3
	s_add_u32 s4, s4, s36
	s_addc_u32 s5, s37, 0
	s_add_u32 s4, s4, 0xc4
	s_addc_u32 s5, s5, 0
	s_mul_i32 s6, s24, 12
	s_add_u32 s6, s36, s6
	s_addc_u32 s7, s37, 0
.LBB15_123:                             ; =>This Inner Loop Header: Depth=1
	s_load_dwordx2 s[10:11], s[6:7], 0x4
	s_load_dword s9, s[6:7], 0xc
	s_load_dwordx2 s[12:13], s[4:5], 0x0
	s_add_u32 s6, s6, 12
	s_addc_u32 s7, s7, 0
	s_waitcnt lgkmcnt(0)
	v_mul_hi_u32 v2, s11, v1
	v_add_u32_e32 v2, v1, v2
	v_lshrrev_b32_e32 v2, s9, v2
	v_mul_lo_u32 v3, v2, s10
	v_mov_b32_e32 v0, v43
	s_add_u32 s4, s4, 8
	v_sub_u32_e32 v4, v1, v3
	v_mov_b32_e32 v1, v2
	s_addc_u32 s5, s5, 0
	s_add_i32 s8, s8, -1
	v_mad_u64_u32 v[2:3], s[10:11], v4, s13, v[0:1]
	v_mad_u64_u32 v[42:43], s[10:11], v4, s12, v[42:43]
	s_cmp_lg_u32 s8, 0
	v_mov_b32_e32 v43, v2
	s_cbranch_scc1 .LBB15_123
; %bb.124:
	v_mov_b32_e32 v0, v43
.LBB15_125:
	s_cbranch_execnz .LBB15_128
.LBB15_126:
	s_waitcnt lgkmcnt(0)
	v_mul_hi_u32 v0, s49, v41
	v_add_u32_e32 v0, v41, v0
	v_lshrrev_b32_e32 v1, s50, v0
	v_mul_lo_u32 v0, v1, s48
	v_sub_u32_e32 v2, v41, v0
	v_mul_lo_u32 v0, v2, s45
	s_andn2_b64 vcc, exec, s[56:57]
	v_mul_lo_u32 v42, v2, s44
	s_cbranch_vccnz .LBB15_128
; %bb.127:
	v_mul_hi_u32 v2, s54, v1
	v_add_u32_e32 v2, v1, v2
	v_lshrrev_b32_e32 v2, s55, v2
	v_mul_lo_u32 v2, v2, s51
	v_sub_u32_e32 v1, v1, v2
	v_mad_u64_u32 v[42:43], s[4:5], v1, s46, v[42:43]
	v_mad_u64_u32 v[0:1], s[4:5], v1, s47, v[0:1]
.LBB15_128:
	s_waitcnt lgkmcnt(0)
	global_load_dword v0, v0, s[42:43]
	s_getpc_b64 s[4:5]
	s_add_u32 s4, s4, _Z17bessel_j1_forwardIfET_S0_@rel32@lo+4
	s_addc_u32 s5, s5, _Z17bessel_j1_forwardIfET_S0_@rel32@hi+12
	s_swappc_b64 s[30:31], s[4:5]
	global_store_dword v42, v0, s[40:41]
	s_or_b64 exec, exec, s[62:63]
                                        ; implicit-def: $vgpr2
                                        ; implicit-def: $vgpr41
	s_andn2_saveexec_b64 s[4:5], s[52:53]
	s_cbranch_execz .LBB15_103
	s_branch .LBB15_9
	.section	.rodata,"a",@progbits
	.p2align	6, 0x0
	.amdhsa_kernel _ZN2at6native32elementwise_kernel_manual_unrollILi128ELi4EZNS0_22gpu_kernel_impl_nocastIZZZNS0_12_GLOBAL__N_121bessel_j1_kernel_cudaERNS_18TensorIteratorBaseEENKUlvE_clEvENKUlvE0_clEvEUlfE_EEvS5_RKT_EUlibE_EEviT1_
		.amdhsa_group_segment_fixed_size 0
		.amdhsa_private_segment_fixed_size 16
		.amdhsa_kernarg_size 360
		.amdhsa_user_sgpr_count 8
		.amdhsa_user_sgpr_private_segment_buffer 1
		.amdhsa_user_sgpr_dispatch_ptr 0
		.amdhsa_user_sgpr_queue_ptr 0
		.amdhsa_user_sgpr_kernarg_segment_ptr 1
		.amdhsa_user_sgpr_dispatch_id 0
		.amdhsa_user_sgpr_flat_scratch_init 1
		.amdhsa_user_sgpr_kernarg_preload_length 0
		.amdhsa_user_sgpr_kernarg_preload_offset 0
		.amdhsa_user_sgpr_private_segment_size 0
		.amdhsa_uses_dynamic_stack 1
		.amdhsa_system_sgpr_private_segment_wavefront_offset 1
		.amdhsa_system_sgpr_workgroup_id_x 1
		.amdhsa_system_sgpr_workgroup_id_y 0
		.amdhsa_system_sgpr_workgroup_id_z 0
		.amdhsa_system_sgpr_workgroup_info 0
		.amdhsa_system_vgpr_workitem_id 0
		.amdhsa_next_free_vgpr 64
		.amdhsa_next_free_sgpr 68
		.amdhsa_accum_offset 64
		.amdhsa_reserve_vcc 1
		.amdhsa_reserve_flat_scratch 1
		.amdhsa_float_round_mode_32 0
		.amdhsa_float_round_mode_16_64 0
		.amdhsa_float_denorm_mode_32 3
		.amdhsa_float_denorm_mode_16_64 3
		.amdhsa_dx10_clamp 1
		.amdhsa_ieee_mode 1
		.amdhsa_fp16_overflow 0
		.amdhsa_tg_split 0
		.amdhsa_exception_fp_ieee_invalid_op 0
		.amdhsa_exception_fp_denorm_src 0
		.amdhsa_exception_fp_ieee_div_zero 0
		.amdhsa_exception_fp_ieee_overflow 0
		.amdhsa_exception_fp_ieee_underflow 0
		.amdhsa_exception_fp_ieee_inexact 0
		.amdhsa_exception_int_div_zero 0
	.end_amdhsa_kernel
	.section	.text._ZN2at6native32elementwise_kernel_manual_unrollILi128ELi4EZNS0_22gpu_kernel_impl_nocastIZZZNS0_12_GLOBAL__N_121bessel_j1_kernel_cudaERNS_18TensorIteratorBaseEENKUlvE_clEvENKUlvE0_clEvEUlfE_EEvS5_RKT_EUlibE_EEviT1_,"axG",@progbits,_ZN2at6native32elementwise_kernel_manual_unrollILi128ELi4EZNS0_22gpu_kernel_impl_nocastIZZZNS0_12_GLOBAL__N_121bessel_j1_kernel_cudaERNS_18TensorIteratorBaseEENKUlvE_clEvENKUlvE0_clEvEUlfE_EEvS5_RKT_EUlibE_EEviT1_,comdat
.Lfunc_end15:
	.size	_ZN2at6native32elementwise_kernel_manual_unrollILi128ELi4EZNS0_22gpu_kernel_impl_nocastIZZZNS0_12_GLOBAL__N_121bessel_j1_kernel_cudaERNS_18TensorIteratorBaseEENKUlvE_clEvENKUlvE0_clEvEUlfE_EEvS5_RKT_EUlibE_EEviT1_, .Lfunc_end15-_ZN2at6native32elementwise_kernel_manual_unrollILi128ELi4EZNS0_22gpu_kernel_impl_nocastIZZZNS0_12_GLOBAL__N_121bessel_j1_kernel_cudaERNS_18TensorIteratorBaseEENKUlvE_clEvENKUlvE0_clEvEUlfE_EEvS5_RKT_EUlibE_EEviT1_
                                        ; -- End function
	.section	.AMDGPU.csdata,"",@progbits
; Kernel info:
; codeLenInByte = 5940
; NumSgprs: 74
; NumVgprs: 64
; NumAgprs: 0
; TotalNumVgprs: 64
; ScratchSize: 16
; MemoryBound: 0
; FloatMode: 240
; IeeeMode: 1
; LDSByteSize: 0 bytes/workgroup (compile time only)
; SGPRBlocks: 9
; VGPRBlocks: 7
; NumSGPRsForWavesPerEU: 74
; NumVGPRsForWavesPerEU: 64
; AccumOffset: 64
; Occupancy: 8
; WaveLimiterHint : 1
; COMPUTE_PGM_RSRC2:SCRATCH_EN: 1
; COMPUTE_PGM_RSRC2:USER_SGPR: 8
; COMPUTE_PGM_RSRC2:TRAP_HANDLER: 0
; COMPUTE_PGM_RSRC2:TGID_X_EN: 1
; COMPUTE_PGM_RSRC2:TGID_Y_EN: 0
; COMPUTE_PGM_RSRC2:TGID_Z_EN: 0
; COMPUTE_PGM_RSRC2:TIDIG_COMP_CNT: 0
; COMPUTE_PGM_RSRC3_GFX90A:ACCUM_OFFSET: 15
; COMPUTE_PGM_RSRC3_GFX90A:TG_SPLIT: 0
	.section	.text._ZN2at6native32elementwise_kernel_manual_unrollILi128ELi4EZNS0_15gpu_kernel_implIZZZNS0_12_GLOBAL__N_121bessel_j1_kernel_cudaERNS_18TensorIteratorBaseEENKUlvE_clEvENKUlvE0_clEvEUlfE_EEvS5_RKT_EUlibE_EEviT1_,"axG",@progbits,_ZN2at6native32elementwise_kernel_manual_unrollILi128ELi4EZNS0_15gpu_kernel_implIZZZNS0_12_GLOBAL__N_121bessel_j1_kernel_cudaERNS_18TensorIteratorBaseEENKUlvE_clEvENKUlvE0_clEvEUlfE_EEvS5_RKT_EUlibE_EEviT1_,comdat
	.globl	_ZN2at6native32elementwise_kernel_manual_unrollILi128ELi4EZNS0_15gpu_kernel_implIZZZNS0_12_GLOBAL__N_121bessel_j1_kernel_cudaERNS_18TensorIteratorBaseEENKUlvE_clEvENKUlvE0_clEvEUlfE_EEvS5_RKT_EUlibE_EEviT1_ ; -- Begin function _ZN2at6native32elementwise_kernel_manual_unrollILi128ELi4EZNS0_15gpu_kernel_implIZZZNS0_12_GLOBAL__N_121bessel_j1_kernel_cudaERNS_18TensorIteratorBaseEENKUlvE_clEvENKUlvE0_clEvEUlfE_EEvS5_RKT_EUlibE_EEviT1_
	.p2align	8
	.type	_ZN2at6native32elementwise_kernel_manual_unrollILi128ELi4EZNS0_15gpu_kernel_implIZZZNS0_12_GLOBAL__N_121bessel_j1_kernel_cudaERNS_18TensorIteratorBaseEENKUlvE_clEvENKUlvE0_clEvEUlfE_EEvS5_RKT_EUlibE_EEviT1_,@function
_ZN2at6native32elementwise_kernel_manual_unrollILi128ELi4EZNS0_15gpu_kernel_implIZZZNS0_12_GLOBAL__N_121bessel_j1_kernel_cudaERNS_18TensorIteratorBaseEENKUlvE_clEvENKUlvE0_clEvEUlfE_EEvS5_RKT_EUlibE_EEviT1_: ; @_ZN2at6native32elementwise_kernel_manual_unrollILi128ELi4EZNS0_15gpu_kernel_implIZZZNS0_12_GLOBAL__N_121bessel_j1_kernel_cudaERNS_18TensorIteratorBaseEENKUlvE_clEvENKUlvE0_clEvEUlfE_EEvS5_RKT_EUlibE_EEviT1_
; %bb.0:
	v_mov_b32_e32 v1, 0
	global_load_ushort v44, v1, s[4:5] offset:33
	s_load_dwordx4 s[36:39], s[4:5], 0x8
	s_load_dwordx2 s[40:41], s[4:5], 0x18
	s_load_dword s62, s[4:5], 0x0
	s_add_u32 flat_scratch_lo, s6, s9
	s_addc_u32 flat_scratch_hi, s7, 0
	v_lshl_or_b32 v45, s8, 9, v0
	s_add_u32 s0, s0, s9
	v_or_b32_e32 v0, 0x180, v45
	s_addc_u32 s1, s1, 0
	s_mov_b64 s[42:43], 0
	s_waitcnt lgkmcnt(0)
	v_cmp_le_i32_e32 vcc, s62, v0
	s_mov_b64 s[46:47], 0
	s_mov_b32 s32, 0
	s_waitcnt vmcnt(0)
	v_lshrrev_b16_e32 v46, 8, v44
	s_and_saveexec_b64 s[4:5], vcc
	s_xor_b64 s[44:45], exec, s[4:5]
	s_cbranch_execz .LBB16_1026
; %bb.1:
	v_cmp_gt_i32_e32 vcc, s62, v45
	s_mov_b64 s[6:7], -1
	s_mov_b64 s[54:55], 0
	s_mov_b64 s[48:49], 0
	s_and_saveexec_b64 s[50:51], vcc
	s_cbranch_execz .LBB16_251
; %bb.2:
	v_mul_lo_u32 v0, v45, s41
	v_ashrrev_i32_e32 v1, 31, v0
	v_mov_b32_e32 v3, s39
	v_add_co_u32_e32 v2, vcc, s38, v0
	v_addc_co_u32_e32 v3, vcc, v3, v1, vcc
	v_cmp_gt_i16_e32 vcc, 11, v46
	s_cbranch_vccnz .LBB16_9
; %bb.3:
	v_cmp_lt_i16_e32 vcc, 25, v46
	s_cbranch_vccz .LBB16_18
; %bb.4:
	v_cmp_lt_i16_e32 vcc, 28, v46
	s_cbranch_vccz .LBB16_22
	;; [unrolled: 3-line block ×4, first 2 shown]
; %bb.7:
	v_cmp_eq_u16_e32 vcc, 46, v46
	s_mov_b64 s[6:7], 0
	s_cbranch_vccz .LBB16_27
; %bb.8:
	global_load_dword v0, v[2:3], off
	s_mov_b64 s[4:5], -1
	s_waitcnt vmcnt(0)
	v_lshlrev_b32_e32 v0, 16, v0
	s_branch .LBB16_29
.LBB16_9:
                                        ; implicit-def: $vgpr0
	s_mov_b64 s[4:5], 0
	s_and_b64 vcc, exec, s[6:7]
	s_cbranch_vccnz .LBB16_202
.LBB16_10:
	s_andn2_b64 vcc, exec, s[4:5]
	s_cbranch_vccnz .LBB16_249
.LBB16_11:
	s_getpc_b64 s[4:5]
	s_add_u32 s4, s4, _Z17bessel_j1_forwardIfET_S0_@rel32@lo+4
	s_addc_u32 s5, s5, _Z17bessel_j1_forwardIfET_S0_@rel32@hi+12
	s_swappc_b64 s[30:31], s[4:5]
	v_mul_lo_u32 v1, v45, s40
	v_ashrrev_i32_e32 v3, 31, v1
	v_mov_b32_e32 v4, s37
	v_add_co_u32_e32 v2, vcc, s36, v1
	v_mov_b32_e32 v1, 11
	v_addc_co_u32_e32 v3, vcc, v4, v3, vcc
	v_cmp_lt_i16_sdwa s[4:5], v44, v1 src0_sel:BYTE_0 src1_sel:DWORD
	s_and_b64 vcc, exec, s[4:5]
	s_cbranch_vccnz .LBB16_19
; %bb.12:
	v_mov_b32_e32 v1, 25
	v_cmp_gt_i16_sdwa s[4:5], v44, v1 src0_sel:BYTE_0 src1_sel:DWORD
	s_and_b64 vcc, exec, s[4:5]
	s_cbranch_vccz .LBB16_23
; %bb.13:
	v_mov_b32_e32 v1, 28
	v_cmp_gt_i16_sdwa s[4:5], v44, v1 src0_sel:BYTE_0 src1_sel:DWORD
	s_and_b64 vcc, exec, s[4:5]
	s_cbranch_vccz .LBB16_25
	;; [unrolled: 5-line block ×4, first 2 shown]
; %bb.16:
	v_mov_b32_e32 v1, 46
	v_cmp_eq_u16_sdwa s[6:7], v44, v1 src0_sel:BYTE_0 src1_sel:DWORD
	s_mov_b64 s[8:9], 0
	s_mov_b64 s[4:5], -1
	s_and_b64 vcc, exec, s[6:7]
	s_mov_b64 s[6:7], 0
	s_cbranch_vccz .LBB16_33
; %bb.17:
	v_bfe_u32 v1, v0, 16, 1
	s_movk_i32 s4, 0x7fff
	v_add3_u32 v1, v0, v1, s4
	v_lshrrev_b32_e32 v1, 16, v1
	v_mov_b32_e32 v4, 0x7fc0
	v_cmp_o_f32_e32 vcc, v0, v0
	v_cndmask_b32_e32 v1, v4, v1, vcc
	global_store_dword v[2:3], v1, off
	s_mov_b64 s[6:7], -1
	s_mov_b64 s[4:5], 0
	s_branch .LBB16_33
.LBB16_18:
	s_mov_b64 s[4:5], 0
                                        ; implicit-def: $vgpr0
	s_and_b64 vcc, exec, s[6:7]
	s_cbranch_vccnz .LBB16_167
	s_branch .LBB16_201
.LBB16_19:
	s_mov_b64 s[4:5], 0
	s_mov_b64 s[6:7], 0
	s_cbranch_execnz .LBB16_102
.LBB16_20:
	s_andn2_b64 vcc, exec, s[6:7]
	s_cbranch_vccnz .LBB16_140
.LBB16_21:
	v_add_u32_e32 v45, 0x80, v45
	s_mov_b64 s[6:7], -1
	s_branch .LBB16_250
.LBB16_22:
	s_mov_b64 s[4:5], 0
                                        ; implicit-def: $vgpr0
	s_branch .LBB16_148
.LBB16_23:
	s_mov_b64 s[8:9], -1
	s_mov_b64 s[4:5], 0
	s_mov_b64 s[6:7], 0
	s_branch .LBB16_60
.LBB16_24:
	s_mov_b64 s[4:5], 0
                                        ; implicit-def: $vgpr0
	s_branch .LBB16_143
.LBB16_25:
	s_mov_b64 s[8:9], -1
	s_mov_b64 s[4:5], 0
	s_mov_b64 s[6:7], 0
	s_branch .LBB16_43
.LBB16_26:
	s_mov_b64 s[8:9], -1
	s_mov_b64 s[4:5], 0
	s_mov_b64 s[6:7], 0
	s_branch .LBB16_39
.LBB16_27:
	s_mov_b64 s[48:49], -1
.LBB16_28:
	s_mov_b64 s[4:5], 0
                                        ; implicit-def: $vgpr0
.LBB16_29:
	s_and_b64 vcc, exec, s[6:7]
	s_cbranch_vccz .LBB16_142
; %bb.30:
	v_cmp_eq_u16_e32 vcc, 44, v46
	s_cbranch_vccz .LBB16_141
; %bb.31:
	global_load_ubyte v0, v[2:3], off
	s_movk_i32 s6, 0xff
	v_mov_b32_e32 v1, 0x7f800001
	v_mov_b32_e32 v4, 0x400000
	s_mov_b64 s[4:5], -1
	s_mov_b64 s[48:49], 0
	s_waitcnt vmcnt(0)
	v_lshlrev_b32_e32 v5, 23, v0
	v_cmp_ne_u32_e32 vcc, s6, v0
	v_cndmask_b32_e32 v1, v1, v5, vcc
	v_cmp_ne_u32_e32 vcc, 0, v0
	v_cndmask_b32_e32 v0, v4, v1, vcc
	s_branch .LBB16_142
.LBB16_32:
	s_mov_b64 s[8:9], -1
	s_mov_b64 s[4:5], 0
	s_mov_b64 s[6:7], 0
.LBB16_33:
	s_and_b64 vcc, exec, s[8:9]
	s_cbranch_vccz .LBB16_38
; %bb.34:
	v_mov_b32_e32 v1, 44
	v_cmp_eq_u16_sdwa s[8:9], v44, v1 src0_sel:BYTE_0 src1_sel:DWORD
	s_mov_b64 s[4:5], -1
	s_and_b64 vcc, exec, s[8:9]
	s_cbranch_vccz .LBB16_38
; %bb.35:
	v_bfe_u32 v1, v0, 23, 8
	s_movk_i32 s4, 0xff
	v_cmp_ne_u32_e32 vcc, s4, v1
	v_mov_b32_e32 v4, 0xff
	s_and_saveexec_b64 s[6:7], vcc
; %bb.36:
	s_mov_b32 s4, 0x3fffff
	v_and_b32_e32 v5, 0x400000, v0
	v_and_or_b32 v1, v0, s4, v1
	v_cmp_ne_u32_e32 vcc, 0, v5
	v_cmp_ne_u32_e64 s[4:5], 0, v1
	s_and_b64 s[4:5], vcc, s[4:5]
	v_lshrrev_b32_e32 v4, 23, v0
	v_cndmask_b32_e64 v1, 0, 1, s[4:5]
	v_add_u32_e32 v4, v4, v1
; %bb.37:
	s_or_b64 exec, exec, s[6:7]
	s_mov_b64 s[6:7], -1
	s_mov_b64 s[4:5], 0
	global_store_byte v[2:3], v4, off
.LBB16_38:
	s_mov_b64 s[8:9], 0
.LBB16_39:
	s_and_b64 vcc, exec, s[8:9]
	s_cbranch_vccz .LBB16_42
; %bb.40:
	v_mov_b32_e32 v1, 29
	v_cmp_eq_u16_sdwa s[8:9], v44, v1 src0_sel:BYTE_0 src1_sel:DWORD
	s_mov_b64 s[4:5], -1
	s_and_b64 vcc, exec, s[8:9]
	s_cbranch_vccz .LBB16_42
; %bb.41:
	v_trunc_f32_e32 v1, v0
	v_mul_f32_e32 v4, 0x2f800000, v1
	v_floor_f32_e32 v4, v4
	v_fmac_f32_e32 v1, 0xcf800000, v4
	v_cvt_u32_f32_e32 v5, v4
	v_cvt_u32_f32_e32 v4, v1
	s_mov_b64 s[6:7], -1
	s_mov_b64 s[4:5], 0
	s_mov_b64 s[8:9], 0
	global_store_dwordx2 v[2:3], v[4:5], off
	s_branch .LBB16_43
.LBB16_42:
	s_mov_b64 s[8:9], 0
.LBB16_43:
	s_and_b64 vcc, exec, s[8:9]
	s_cbranch_vccz .LBB16_59
; %bb.44:
	v_mov_b32_e32 v1, 27
	v_cmp_lt_i16_sdwa s[8:9], v44, v1 src0_sel:BYTE_0 src1_sel:DWORD
	s_mov_b64 s[6:7], -1
	s_and_b64 vcc, exec, s[8:9]
	s_cbranch_vccnz .LBB16_50
; %bb.45:
	v_cmp_gt_i16_sdwa s[8:9], v44, v1 src0_sel:BYTE_0 src1_sel:DWORD
	v_cvt_u32_f32_e32 v1, v0
	s_and_b64 vcc, exec, s[8:9]
	s_cbranch_vccz .LBB16_47
; %bb.46:
	s_mov_b64 s[6:7], 0
	global_store_dword v[2:3], v1, off
.LBB16_47:
	s_andn2_b64 vcc, exec, s[6:7]
	s_cbranch_vccnz .LBB16_49
; %bb.48:
	global_store_short v[2:3], v1, off
.LBB16_49:
	s_mov_b64 s[6:7], 0
.LBB16_50:
	s_andn2_b64 vcc, exec, s[6:7]
	s_cbranch_vccnz .LBB16_58
; %bb.51:
	v_and_b32_e32 v1, 0x7fffffff, v0
	s_mov_b32 s6, 0x43800000
	v_cmp_gt_u32_e32 vcc, s6, v1
	v_mov_b32_e32 v4, 0x80
	s_and_saveexec_b64 s[6:7], vcc
	s_cbranch_execz .LBB16_57
; %bb.52:
	s_mov_b32 s8, 0x3bffffff
	v_cmp_lt_u32_e32 vcc, s8, v1
	s_mov_b64 s[8:9], 0
                                        ; implicit-def: $vgpr1
	s_and_saveexec_b64 s[10:11], vcc
	s_xor_b64 s[10:11], exec, s[10:11]
	s_cbranch_execz .LBB16_278
; %bb.53:
	v_bfe_u32 v1, v0, 20, 1
	s_mov_b32 s12, 0x487ffff
	v_add3_u32 v1, v0, v1, s12
	s_mov_b64 s[8:9], exec
	v_lshrrev_b32_e32 v1, 20, v1
	s_or_saveexec_b64 s[10:11], s[10:11]
                                        ; implicit-def: $sgpr12
	s_xor_b64 exec, exec, s[10:11]
	s_cbranch_execnz .LBB16_279
.LBB16_54:
	s_or_b64 exec, exec, s[10:11]
	v_mov_b32_e32 v4, s12
	s_and_saveexec_b64 s[10:11], s[8:9]
.LBB16_55:
	v_lshrrev_b32_e32 v4, 24, v0
	s_movk_i32 s8, 0x80
	v_and_or_b32 v4, v4, s8, v1
.LBB16_56:
	s_or_b64 exec, exec, s[10:11]
.LBB16_57:
	s_or_b64 exec, exec, s[6:7]
	global_store_byte v[2:3], v4, off
.LBB16_58:
	s_mov_b64 s[6:7], -1
.LBB16_59:
	s_mov_b64 s[8:9], 0
.LBB16_60:
	s_and_b64 vcc, exec, s[8:9]
	s_cbranch_vccz .LBB16_101
; %bb.61:
	v_mov_b32_e32 v1, 22
	v_cmp_gt_i16_sdwa s[10:11], v44, v1 src0_sel:BYTE_0 src1_sel:DWORD
	s_mov_b64 s[8:9], -1
	s_and_b64 vcc, exec, s[10:11]
	s_cbranch_vccz .LBB16_93
; %bb.62:
	v_mov_b32_e32 v1, 24
	v_cmp_lt_i16_sdwa s[8:9], v44, v1 src0_sel:BYTE_0 src1_sel:DWORD
	s_mov_b64 s[6:7], -1
	s_and_b64 vcc, exec, s[8:9]
	s_cbranch_vccnz .LBB16_82
; %bb.63:
	v_cmp_gt_i16_sdwa s[8:9], v44, v1 src0_sel:BYTE_0 src1_sel:DWORD
	s_and_b64 vcc, exec, s[8:9]
	s_cbranch_vccz .LBB16_71
; %bb.64:
	v_and_b32_e32 v1, 0x7fffffff, v0
	s_mov_b32 s6, 0x47800000
	v_cmp_gt_u32_e32 vcc, s6, v1
	v_mov_b32_e32 v4, 0x80
	s_and_saveexec_b64 s[6:7], vcc
	s_cbranch_execz .LBB16_70
; %bb.65:
	s_mov_b32 s8, 0x37ffffff
	v_cmp_lt_u32_e32 vcc, s8, v1
	s_mov_b64 s[8:9], 0
                                        ; implicit-def: $vgpr1
	s_and_saveexec_b64 s[10:11], vcc
	s_xor_b64 s[10:11], exec, s[10:11]
	s_cbranch_execz .LBB16_282
; %bb.66:
	v_bfe_u32 v1, v0, 21, 1
	s_mov_b32 s12, 0x88fffff
	v_add3_u32 v1, v0, v1, s12
	s_mov_b64 s[8:9], exec
	v_lshrrev_b32_e32 v1, 21, v1
	s_or_saveexec_b64 s[10:11], s[10:11]
                                        ; implicit-def: $sgpr12
	s_xor_b64 exec, exec, s[10:11]
	s_cbranch_execnz .LBB16_283
.LBB16_67:
	s_or_b64 exec, exec, s[10:11]
	v_mov_b32_e32 v4, s12
	s_and_saveexec_b64 s[10:11], s[8:9]
.LBB16_68:
	v_lshrrev_b32_e32 v4, 24, v0
	s_movk_i32 s8, 0x80
	v_and_or_b32 v4, v4, s8, v1
.LBB16_69:
	s_or_b64 exec, exec, s[10:11]
.LBB16_70:
	s_or_b64 exec, exec, s[6:7]
	s_mov_b64 s[6:7], 0
	global_store_byte v[2:3], v4, off
.LBB16_71:
	s_and_b64 vcc, exec, s[6:7]
	s_cbranch_vccz .LBB16_81
; %bb.72:
	v_and_b32_e32 v4, 0x7fffffff, v0
	s_mov_b32 s6, 0x43f00000
	v_cmp_gt_u32_e32 vcc, s6, v4
                                        ; implicit-def: $vgpr1
	s_and_saveexec_b64 s[6:7], vcc
	s_xor_b64 s[6:7], exec, s[6:7]
	s_cbranch_execz .LBB16_78
; %bb.73:
	s_mov_b32 s8, 0x3c7fffff
	v_cmp_lt_u32_e32 vcc, s8, v4
                                        ; implicit-def: $vgpr1
	s_and_saveexec_b64 s[8:9], vcc
	s_xor_b64 s[8:9], exec, s[8:9]
; %bb.74:
	v_bfe_u32 v1, v0, 20, 1
	s_mov_b32 s10, 0x407ffff
	v_add3_u32 v1, v0, v1, s10
	v_lshrrev_b32_e32 v4, 20, v1
	v_and_b32_e32 v1, 0xff00000, v1
	s_mov_b32 s10, 0x7f00000
	v_mov_b32_e32 v5, 0x7e
	v_cmp_ne_u32_e32 vcc, s10, v1
	v_cndmask_b32_e32 v1, v5, v4, vcc
; %bb.75:
	s_andn2_saveexec_b64 s[8:9], s[8:9]
; %bb.76:
	s_mov_b32 s10, 0x46800000
	v_add_f32_e64 v1, |v0|, s10
; %bb.77:
	s_or_b64 exec, exec, s[8:9]
                                        ; implicit-def: $vgpr4
.LBB16_78:
	s_andn2_saveexec_b64 s[6:7], s[6:7]
; %bb.79:
	s_mov_b32 s8, 0x7f800000
	v_mov_b32_e32 v1, 0x7e
	v_mov_b32_e32 v5, 0x7f
	v_cmp_lt_u32_e32 vcc, s8, v4
	v_cndmask_b32_e32 v1, v1, v5, vcc
; %bb.80:
	s_or_b64 exec, exec, s[6:7]
	v_lshrrev_b32_e32 v4, 24, v0
	s_movk_i32 s6, 0x80
	v_and_or_b32 v1, v4, s6, v1
	global_store_byte v[2:3], v1, off
.LBB16_81:
	s_mov_b64 s[6:7], 0
.LBB16_82:
	s_andn2_b64 vcc, exec, s[6:7]
	s_cbranch_vccnz .LBB16_92
; %bb.83:
	v_and_b32_e32 v4, 0x7fffffff, v0
	s_mov_b32 s6, 0x47800000
	v_cmp_gt_u32_e32 vcc, s6, v4
                                        ; implicit-def: $vgpr1
	s_and_saveexec_b64 s[6:7], vcc
	s_xor_b64 s[6:7], exec, s[6:7]
	s_cbranch_execz .LBB16_89
; %bb.84:
	s_mov_b32 s8, 0x387fffff
	v_cmp_lt_u32_e32 vcc, s8, v4
                                        ; implicit-def: $vgpr1
	s_and_saveexec_b64 s[8:9], vcc
	s_xor_b64 s[8:9], exec, s[8:9]
; %bb.85:
	v_bfe_u32 v1, v0, 21, 1
	s_mov_b32 s10, 0x80fffff
	v_add3_u32 v1, v0, v1, s10
	v_lshrrev_b32_e32 v1, 21, v1
; %bb.86:
	s_andn2_saveexec_b64 s[8:9], s[8:9]
; %bb.87:
	s_mov_b32 s10, 0x43000000
	v_add_f32_e64 v1, |v0|, s10
; %bb.88:
	s_or_b64 exec, exec, s[8:9]
                                        ; implicit-def: $vgpr4
.LBB16_89:
	s_andn2_saveexec_b64 s[6:7], s[6:7]
; %bb.90:
	s_mov_b32 s8, 0x7f800000
	v_mov_b32_e32 v1, 0x7c
	v_mov_b32_e32 v5, 0x7f
	v_cmp_lt_u32_e32 vcc, s8, v4
	v_cndmask_b32_e32 v1, v1, v5, vcc
; %bb.91:
	s_or_b64 exec, exec, s[6:7]
	v_lshrrev_b32_e32 v4, 24, v0
	s_movk_i32 s6, 0x80
	v_and_or_b32 v1, v4, s6, v1
	global_store_byte v[2:3], v1, off
.LBB16_92:
	s_mov_b64 s[8:9], 0
	s_mov_b64 s[6:7], -1
.LBB16_93:
	s_andn2_b64 vcc, exec, s[8:9]
	s_cbranch_vccnz .LBB16_101
; %bb.94:
	v_mov_b32_e32 v1, 14
	v_cmp_gt_i16_sdwa s[10:11], v44, v1 src0_sel:BYTE_0 src1_sel:DWORD
	s_mov_b64 s[8:9], -1
	s_and_b64 vcc, exec, s[10:11]
	s_cbranch_vccz .LBB16_98
; %bb.95:
	v_mov_b32_e32 v1, 15
	v_cmp_eq_u16_sdwa s[8:9], v44, v1 src0_sel:BYTE_0 src1_sel:DWORD
	s_mov_b64 s[4:5], -1
	s_and_b64 vcc, exec, s[8:9]
	s_cbranch_vccz .LBB16_97
; %bb.96:
	v_bfe_u32 v1, v0, 16, 1
	s_movk_i32 s4, 0x7fff
	v_add3_u32 v1, v0, v1, s4
	v_lshrrev_b32_e32 v1, 16, v1
	v_mov_b32_e32 v4, 0x7fc0
	v_cmp_o_f32_e32 vcc, v0, v0
	v_cndmask_b32_e32 v1, v4, v1, vcc
	global_store_short v[2:3], v1, off
	s_mov_b64 s[6:7], -1
	s_mov_b64 s[4:5], 0
.LBB16_97:
	s_mov_b64 s[8:9], 0
.LBB16_98:
	s_and_b64 vcc, exec, s[8:9]
	s_cbranch_vccz .LBB16_101
; %bb.99:
	v_mov_b32_e32 v1, 11
	v_cmp_eq_u16_sdwa s[8:9], v44, v1 src0_sel:BYTE_0 src1_sel:DWORD
	s_mov_b64 s[4:5], -1
	s_and_b64 vcc, exec, s[8:9]
	s_cbranch_vccz .LBB16_101
; %bb.100:
	v_cmp_neq_f32_e32 vcc, 0, v0
	v_cndmask_b32_e64 v1, 0, 1, vcc
	s_mov_b64 s[6:7], -1
	s_mov_b64 s[4:5], 0
	global_store_byte v[2:3], v1, off
.LBB16_101:
	s_branch .LBB16_20
.LBB16_102:
	v_mov_b32_e32 v1, 5
	v_cmp_lt_i16_sdwa s[8:9], v44, v1 src0_sel:BYTE_0 src1_sel:DWORD
	s_mov_b64 s[6:7], -1
	s_and_b64 vcc, exec, s[8:9]
	s_cbranch_vccnz .LBB16_123
; %bb.103:
	v_mov_b32_e32 v1, 8
	v_cmp_lt_i16_sdwa s[8:9], v44, v1 src0_sel:BYTE_0 src1_sel:DWORD
	s_and_b64 vcc, exec, s[8:9]
	s_cbranch_vccnz .LBB16_113
; %bb.104:
	v_mov_b32_e32 v1, 9
	v_cmp_lt_i16_sdwa s[8:9], v44, v1 src0_sel:BYTE_0 src1_sel:DWORD
	s_and_b64 vcc, exec, s[8:9]
	s_cbranch_vccnz .LBB16_110
; %bb.105:
	v_cmp_gt_i16_sdwa s[8:9], v44, v1 src0_sel:BYTE_0 src1_sel:DWORD
	s_and_b64 vcc, exec, s[8:9]
	s_cbranch_vccz .LBB16_107
; %bb.106:
	v_mov_b32_e32 v6, 0
	v_cvt_f64_f32_e32 v[4:5], v0
	v_mov_b32_e32 v7, v6
	global_store_dwordx4 v[2:3], v[4:7], off
	s_mov_b64 s[6:7], 0
.LBB16_107:
	s_andn2_b64 vcc, exec, s[6:7]
	s_cbranch_vccnz .LBB16_109
; %bb.108:
	v_mov_b32_e32 v1, 0
	global_store_dwordx2 v[2:3], v[0:1], off
.LBB16_109:
	s_mov_b64 s[6:7], 0
.LBB16_110:
	s_andn2_b64 vcc, exec, s[6:7]
	s_cbranch_vccnz .LBB16_112
; %bb.111:
	v_cvt_f16_f32_e32 v1, v0
	global_store_dword v[2:3], v1, off
.LBB16_112:
	s_mov_b64 s[6:7], 0
.LBB16_113:
	s_andn2_b64 vcc, exec, s[6:7]
	s_cbranch_vccnz .LBB16_122
; %bb.114:
	v_mov_b32_e32 v1, 6
	v_cmp_lt_i16_sdwa s[8:9], v44, v1 src0_sel:BYTE_0 src1_sel:DWORD
	s_mov_b64 s[6:7], -1
	s_and_b64 vcc, exec, s[8:9]
	s_cbranch_vccnz .LBB16_120
; %bb.115:
	v_cmp_gt_i16_sdwa s[8:9], v44, v1 src0_sel:BYTE_0 src1_sel:DWORD
	s_and_b64 vcc, exec, s[8:9]
	s_cbranch_vccz .LBB16_117
; %bb.116:
	v_cvt_f64_f32_e32 v[4:5], v0
	global_store_dwordx2 v[2:3], v[4:5], off
	s_mov_b64 s[6:7], 0
.LBB16_117:
	s_andn2_b64 vcc, exec, s[6:7]
	s_cbranch_vccnz .LBB16_119
; %bb.118:
	global_store_dword v[2:3], v0, off
.LBB16_119:
	s_mov_b64 s[6:7], 0
.LBB16_120:
	s_andn2_b64 vcc, exec, s[6:7]
	s_cbranch_vccnz .LBB16_122
; %bb.121:
	v_cvt_f16_f32_e32 v1, v0
	global_store_short v[2:3], v1, off
.LBB16_122:
	s_mov_b64 s[6:7], 0
.LBB16_123:
	s_andn2_b64 vcc, exec, s[6:7]
	s_cbranch_vccnz .LBB16_139
; %bb.124:
	v_mov_b32_e32 v1, 2
	v_cmp_lt_i16_sdwa s[8:9], v44, v1 src0_sel:BYTE_0 src1_sel:DWORD
	s_mov_b64 s[6:7], -1
	s_and_b64 vcc, exec, s[8:9]
	s_cbranch_vccnz .LBB16_134
; %bb.125:
	v_mov_b32_e32 v1, 3
	v_cmp_lt_i16_sdwa s[8:9], v44, v1 src0_sel:BYTE_0 src1_sel:DWORD
	s_and_b64 vcc, exec, s[8:9]
	s_cbranch_vccnz .LBB16_131
; %bb.126:
	v_cmp_gt_i16_sdwa s[8:9], v44, v1 src0_sel:BYTE_0 src1_sel:DWORD
	s_and_b64 vcc, exec, s[8:9]
	s_cbranch_vccz .LBB16_128
; %bb.127:
	v_trunc_f32_e32 v1, v0
	s_mov_b32 s6, 0x2f800000
	v_mul_f32_e64 v4, |v1|, s6
	v_floor_f32_e32 v4, v4
	s_mov_b32 s6, 0xcf800000
	v_cvt_u32_f32_e32 v5, v4
	v_fma_f32 v4, v4, s6, |v1|
	v_cvt_u32_f32_e32 v4, v4
	v_ashrrev_i32_e32 v1, 31, v1
	v_xor_b32_e32 v5, v5, v1
	s_mov_b64 s[6:7], 0
	v_xor_b32_e32 v4, v4, v1
	v_sub_co_u32_e32 v4, vcc, v4, v1
	v_subb_co_u32_e32 v5, vcc, v5, v1, vcc
	global_store_dwordx2 v[2:3], v[4:5], off
.LBB16_128:
	s_andn2_b64 vcc, exec, s[6:7]
	s_cbranch_vccnz .LBB16_130
; %bb.129:
	v_cvt_i32_f32_e32 v1, v0
	global_store_dword v[2:3], v1, off
.LBB16_130:
	s_mov_b64 s[6:7], 0
.LBB16_131:
	s_andn2_b64 vcc, exec, s[6:7]
	s_cbranch_vccnz .LBB16_133
; %bb.132:
	v_cvt_i32_f32_e32 v1, v0
	global_store_short v[2:3], v1, off
.LBB16_133:
	s_mov_b64 s[6:7], 0
.LBB16_134:
	s_andn2_b64 vcc, exec, s[6:7]
	s_cbranch_vccnz .LBB16_139
; %bb.135:
	v_mov_b32_e32 v1, 0
	v_cmp_gt_i16_sdwa s[8:9], v44, v1 src0_sel:BYTE_0 src1_sel:DWORD
	s_mov_b64 s[6:7], -1
	s_and_b64 vcc, exec, s[8:9]
	s_cbranch_vccz .LBB16_137
; %bb.136:
	v_cvt_i32_f32_e32 v1, v0
	s_mov_b64 s[6:7], 0
	global_store_byte v[2:3], v1, off
.LBB16_137:
	s_andn2_b64 vcc, exec, s[6:7]
	s_cbranch_vccnz .LBB16_139
; %bb.138:
	v_trunc_f32_e32 v0, v0
	s_mov_b32 s6, 0x2f800000
	v_mul_f32_e64 v1, |v0|, s6
	v_floor_f32_e32 v1, v1
	s_mov_b32 s6, 0xcf800000
	v_fma_f32 v1, v1, s6, |v0|
	v_cvt_u32_f32_e32 v1, v1
	v_ashrrev_i32_e32 v0, 31, v0
	v_xor_b32_e32 v1, v1, v0
	v_sub_u32_e32 v0, v1, v0
	global_store_byte v[2:3], v0, off
.LBB16_139:
	s_branch .LBB16_21
.LBB16_140:
	s_mov_b64 s[6:7], 0
                                        ; implicit-def: $vgpr45
	s_branch .LBB16_250
.LBB16_141:
	s_mov_b64 s[48:49], -1
                                        ; implicit-def: $vgpr0
.LBB16_142:
	s_mov_b64 s[6:7], 0
.LBB16_143:
	s_and_b64 vcc, exec, s[6:7]
	s_cbranch_vccz .LBB16_147
; %bb.144:
	v_cmp_eq_u16_e32 vcc, 29, v46
	s_cbranch_vccz .LBB16_146
; %bb.145:
	global_load_dwordx2 v[0:1], v[2:3], off
	s_mov_b64 s[4:5], -1
	s_mov_b64 s[48:49], 0
	s_mov_b64 s[6:7], 0
	s_waitcnt vmcnt(0)
	v_ffbh_u32_e32 v4, v1
	v_min_u32_e32 v4, 32, v4
	v_lshlrev_b64 v[0:1], v4, v[0:1]
	v_min_u32_e32 v0, 1, v0
	v_or_b32_e32 v0, v1, v0
	v_cvt_f32_u32_e32 v0, v0
	v_sub_u32_e32 v1, 32, v4
	v_ldexp_f32 v0, v0, v1
	s_branch .LBB16_148
.LBB16_146:
	s_mov_b64 s[48:49], -1
                                        ; implicit-def: $vgpr0
.LBB16_147:
	s_mov_b64 s[6:7], 0
.LBB16_148:
	s_and_b64 vcc, exec, s[6:7]
	s_cbranch_vccz .LBB16_166
; %bb.149:
	v_cmp_gt_i16_e32 vcc, 27, v46
	s_cbranch_vccnz .LBB16_152
; %bb.150:
	v_cmp_lt_i16_e32 vcc, 27, v46
	s_cbranch_vccz .LBB16_153
; %bb.151:
	global_load_dword v0, v[2:3], off
	s_mov_b64 s[4:5], 0
	s_waitcnt vmcnt(0)
	v_cvt_f32_u32_e32 v0, v0
	s_branch .LBB16_154
.LBB16_152:
	s_mov_b64 s[4:5], -1
                                        ; implicit-def: $vgpr0
	s_branch .LBB16_157
.LBB16_153:
	s_mov_b64 s[4:5], -1
                                        ; implicit-def: $vgpr0
.LBB16_154:
	s_andn2_b64 vcc, exec, s[4:5]
	s_cbranch_vccnz .LBB16_156
; %bb.155:
	global_load_ushort v0, v[2:3], off
	s_waitcnt vmcnt(0)
	v_cvt_f32_u32_e32 v0, v0
.LBB16_156:
	s_mov_b64 s[4:5], 0
.LBB16_157:
	s_andn2_b64 vcc, exec, s[4:5]
	s_cbranch_vccnz .LBB16_165
; %bb.158:
	global_load_ubyte v1, v[2:3], off
	s_movk_i32 s4, 0x7f
                                        ; implicit-def: $sgpr10
	s_waitcnt vmcnt(0)
	v_cmp_lt_i16_e32 vcc, s4, v1
	s_mov_b64 s[4:5], 0
	s_and_saveexec_b64 s[6:7], vcc
	s_xor_b64 s[6:7], exec, s[6:7]
	s_cbranch_execz .LBB16_178
; %bb.159:
	s_movk_i32 s4, 0x80
	v_cmp_eq_u16_e32 vcc, s4, v1
	s_mov_b64 s[4:5], -1
                                        ; implicit-def: $sgpr10
	s_and_saveexec_b64 s[8:9], vcc
; %bb.160:
	s_mov_b32 s10, 0x7f800001
	s_xor_b64 s[4:5], exec, -1
; %bb.161:
	s_or_b64 exec, exec, s[8:9]
	s_and_b64 s[4:5], s[4:5], exec
	s_or_saveexec_b64 s[6:7], s[6:7]
	v_mov_b32_e32 v0, s10
	s_xor_b64 exec, exec, s[6:7]
	s_cbranch_execnz .LBB16_179
.LBB16_162:
	s_or_b64 exec, exec, s[6:7]
	s_and_saveexec_b64 s[6:7], s[4:5]
	s_cbranch_execz .LBB16_164
.LBB16_163:
	v_lshlrev_b32_e32 v0, 24, v1
	v_and_b32_e32 v1, 0xffff, v1
	v_and_b32_e32 v4, 7, v1
	v_ffbh_u32_e32 v6, v4
	v_min_u32_e32 v6, 32, v6
	v_subrev_u32_e32 v7, 28, v6
	v_bfe_u32 v5, v1, 3, 4
	v_lshlrev_b32_e32 v1, v7, v1
	v_sub_u32_e32 v6, 29, v6
	v_and_b32_e32 v1, 7, v1
	v_cmp_eq_u32_e32 vcc, 0, v5
	v_cndmask_b32_e32 v5, v5, v6, vcc
	v_cndmask_b32_e32 v1, v4, v1, vcc
	v_mov_b32_e32 v4, 0x3b800000
	v_lshlrev_b32_e32 v1, 20, v1
	v_and_b32_e32 v0, 0x80000000, v0
	v_lshl_add_u32 v4, v5, 23, v4
	v_or3_b32 v0, v0, v4, v1
.LBB16_164:
	s_or_b64 exec, exec, s[6:7]
.LBB16_165:
	s_mov_b64 s[4:5], -1
.LBB16_166:
	s_branch .LBB16_201
.LBB16_167:
	v_cmp_lt_i16_e32 vcc, 22, v46
	s_cbranch_vccz .LBB16_177
; %bb.168:
	v_cmp_gt_i16_e32 vcc, 24, v46
	s_cbranch_vccnz .LBB16_180
; %bb.169:
	v_cmp_lt_i16_e32 vcc, 24, v46
	s_cbranch_vccz .LBB16_181
; %bb.170:
	global_load_ubyte v1, v[2:3], off
	s_movk_i32 s4, 0x7f
                                        ; implicit-def: $sgpr10
	s_waitcnt vmcnt(0)
	v_cmp_lt_i16_e32 vcc, s4, v1
	s_mov_b64 s[4:5], 0
	s_and_saveexec_b64 s[6:7], vcc
	s_xor_b64 s[6:7], exec, s[6:7]
	s_cbranch_execz .LBB16_193
; %bb.171:
	s_movk_i32 s4, 0x80
	v_cmp_eq_u16_e32 vcc, s4, v1
	s_mov_b64 s[4:5], -1
                                        ; implicit-def: $sgpr10
	s_and_saveexec_b64 s[8:9], vcc
; %bb.172:
	s_mov_b32 s10, 0x7f800001
	s_xor_b64 s[4:5], exec, -1
; %bb.173:
	s_or_b64 exec, exec, s[8:9]
	s_and_b64 s[4:5], s[4:5], exec
	s_or_saveexec_b64 s[6:7], s[6:7]
	v_mov_b32_e32 v0, s10
	s_xor_b64 exec, exec, s[6:7]
	s_cbranch_execnz .LBB16_194
.LBB16_174:
	s_or_b64 exec, exec, s[6:7]
	s_and_saveexec_b64 s[6:7], s[4:5]
	s_cbranch_execz .LBB16_176
.LBB16_175:
	v_lshlrev_b32_e32 v0, 24, v1
	v_and_b32_e32 v1, 0xffff, v1
	v_and_b32_e32 v4, 3, v1
	v_ffbh_u32_e32 v6, v4
	v_min_u32_e32 v6, 32, v6
	v_subrev_u32_e32 v7, 29, v6
	v_bfe_u32 v5, v1, 2, 5
	v_lshlrev_b32_e32 v1, v7, v1
	v_sub_u32_e32 v6, 30, v6
	v_and_b32_e32 v1, 3, v1
	v_cmp_eq_u32_e32 vcc, 0, v5
	v_cndmask_b32_e32 v5, v5, v6, vcc
	v_cndmask_b32_e32 v1, v4, v1, vcc
	v_mov_b32_e32 v4, 0x37800000
	v_lshlrev_b32_e32 v1, 21, v1
	v_and_b32_e32 v0, 0x80000000, v0
	v_lshl_add_u32 v4, v5, 23, v4
	v_or3_b32 v0, v0, v4, v1
.LBB16_176:
	s_or_b64 exec, exec, s[6:7]
	s_mov_b64 s[4:5], 0
	s_branch .LBB16_182
.LBB16_177:
	s_mov_b64 s[6:7], -1
                                        ; implicit-def: $vgpr0
	s_branch .LBB16_188
.LBB16_178:
	s_or_saveexec_b64 s[6:7], s[6:7]
	v_mov_b32_e32 v0, s10
	s_xor_b64 exec, exec, s[6:7]
	s_cbranch_execz .LBB16_162
.LBB16_179:
	v_cmp_ne_u16_e32 vcc, 0, v1
	s_andn2_b64 s[4:5], s[4:5], exec
	s_and_b64 s[8:9], vcc, exec
	v_mov_b32_e32 v0, 0
	s_or_b64 s[4:5], s[4:5], s[8:9]
	s_or_b64 exec, exec, s[6:7]
	s_and_saveexec_b64 s[6:7], s[4:5]
	s_cbranch_execnz .LBB16_163
	s_branch .LBB16_164
.LBB16_180:
	s_mov_b64 s[4:5], -1
                                        ; implicit-def: $vgpr0
	s_branch .LBB16_185
.LBB16_181:
	s_mov_b64 s[4:5], -1
                                        ; implicit-def: $vgpr0
.LBB16_182:
	s_and_b64 vcc, exec, s[4:5]
	s_cbranch_vccz .LBB16_184
; %bb.183:
	global_load_ubyte v0, v[2:3], off
	s_mov_b32 s4, 0x7f800000
	s_waitcnt vmcnt(0)
	v_lshlrev_b32_e32 v0, 24, v0
	v_and_b32_e32 v1, 0x7f000000, v0
	v_ffbh_u32_e32 v4, v1
	v_min_u32_e32 v4, 32, v4
	v_sub_u32_e64 v4, v4, 4 clamp
	v_lshlrev_b32_e32 v6, v4, v1
	v_lshlrev_b32_e32 v4, 23, v4
	v_lshrrev_b32_e32 v6, 4, v6
	v_add_u32_e32 v5, 0x1000000, v1
	v_sub_u32_e32 v4, v6, v4
	v_ashrrev_i32_e32 v5, 8, v5
	v_add_u32_e32 v4, 0x3c000000, v4
	v_and_or_b32 v4, v5, s4, v4
	v_cmp_ne_u32_e32 vcc, 0, v1
	v_cndmask_b32_e32 v1, 0, v4, vcc
	s_brev_b32 s4, 1
	v_and_or_b32 v0, v0, s4, v1
.LBB16_184:
	s_mov_b64 s[4:5], 0
.LBB16_185:
	s_andn2_b64 vcc, exec, s[4:5]
	s_cbranch_vccnz .LBB16_187
; %bb.186:
	global_load_ubyte v0, v[2:3], off
	s_movk_i32 s4, 0x7f00
	s_brev_b32 s5, 16
	s_waitcnt vmcnt(0)
	v_lshlrev_b16_e32 v1, 8, v0
	v_lshlrev_b32_e32 v0, 25, v0
	v_lshrrev_b32_e32 v4, 4, v0
	v_and_or_b32 v5, v1, s4, 0.5
	v_or_b32_e32 v4, 0x70000000, v4
	v_add_f32_e32 v5, -0.5, v5
	v_mul_f32_e32 v4, 0x7800000, v4
	v_cmp_gt_u32_e32 vcc, s5, v0
	v_bfe_i32 v1, v1, 0, 16
	v_cndmask_b32_e32 v0, v4, v5, vcc
	s_brev_b32 s4, 1
	v_and_or_b32 v0, v1, s4, v0
.LBB16_187:
	s_mov_b64 s[6:7], 0
	s_mov_b64 s[4:5], -1
.LBB16_188:
	s_andn2_b64 vcc, exec, s[6:7]
	s_cbranch_vccnz .LBB16_201
; %bb.189:
	v_cmp_lt_i16_e32 vcc, 14, v46
	s_cbranch_vccz .LBB16_192
; %bb.190:
	v_cmp_eq_u16_e32 vcc, 15, v46
	s_cbranch_vccz .LBB16_195
; %bb.191:
	global_load_ushort v0, v[2:3], off
	s_mov_b64 s[4:5], -1
	s_mov_b64 s[48:49], 0
	s_waitcnt vmcnt(0)
	v_lshlrev_b32_e32 v0, 16, v0
	s_branch .LBB16_196
.LBB16_192:
	s_mov_b64 s[6:7], -1
                                        ; implicit-def: $vgpr0
	s_branch .LBB16_197
.LBB16_193:
	s_or_saveexec_b64 s[6:7], s[6:7]
	v_mov_b32_e32 v0, s10
	s_xor_b64 exec, exec, s[6:7]
	s_cbranch_execz .LBB16_174
.LBB16_194:
	v_cmp_ne_u16_e32 vcc, 0, v1
	s_andn2_b64 s[4:5], s[4:5], exec
	s_and_b64 s[8:9], vcc, exec
	v_mov_b32_e32 v0, 0
	s_or_b64 s[4:5], s[4:5], s[8:9]
	s_or_b64 exec, exec, s[6:7]
	s_and_saveexec_b64 s[6:7], s[4:5]
	s_cbranch_execnz .LBB16_175
	s_branch .LBB16_176
.LBB16_195:
	s_mov_b64 s[48:49], -1
                                        ; implicit-def: $vgpr0
.LBB16_196:
	s_mov_b64 s[6:7], 0
.LBB16_197:
	s_and_b64 vcc, exec, s[6:7]
	s_cbranch_vccz .LBB16_201
; %bb.198:
	v_cmp_eq_u16_e32 vcc, 11, v46
	s_cbranch_vccz .LBB16_200
; %bb.199:
	global_load_ubyte v0, v[2:3], off
	s_mov_b64 s[4:5], -1
	s_mov_b64 s[48:49], 0
	s_waitcnt vmcnt(0)
	v_cmp_ne_u16_e32 vcc, 0, v0
	v_cndmask_b32_e64 v0, 0, 1.0, vcc
	s_branch .LBB16_201
.LBB16_200:
	s_mov_b64 s[48:49], -1
                                        ; implicit-def: $vgpr0
.LBB16_201:
	s_branch .LBB16_10
.LBB16_202:
	v_cmp_gt_i16_e32 vcc, 5, v46
	s_cbranch_vccnz .LBB16_207
; %bb.203:
	v_cmp_gt_i16_e32 vcc, 8, v46
	s_cbranch_vccnz .LBB16_208
; %bb.204:
	;; [unrolled: 3-line block ×3, first 2 shown]
	v_cmp_lt_i16_e32 vcc, 9, v46
	s_cbranch_vccz .LBB16_210
; %bb.206:
	global_load_dwordx2 v[0:1], v[2:3], off
	s_mov_b64 s[4:5], 0
	s_waitcnt vmcnt(0)
	v_cvt_f32_f64_e32 v0, v[0:1]
	s_branch .LBB16_211
.LBB16_207:
                                        ; implicit-def: $vgpr0
	s_branch .LBB16_229
.LBB16_208:
	s_mov_b64 s[4:5], -1
                                        ; implicit-def: $vgpr0
	s_branch .LBB16_217
.LBB16_209:
	s_mov_b64 s[4:5], -1
                                        ; implicit-def: $vgpr0
	s_branch .LBB16_214
.LBB16_210:
	s_mov_b64 s[4:5], -1
                                        ; implicit-def: $vgpr0
.LBB16_211:
	s_andn2_b64 vcc, exec, s[4:5]
	s_cbranch_vccnz .LBB16_213
; %bb.212:
	global_load_dword v0, v[2:3], off
.LBB16_213:
	s_mov_b64 s[4:5], 0
.LBB16_214:
	s_andn2_b64 vcc, exec, s[4:5]
	s_cbranch_vccnz .LBB16_216
; %bb.215:
	global_load_dword v0, v[2:3], off
	s_waitcnt vmcnt(0)
	v_cvt_f32_f16_e32 v0, v0
.LBB16_216:
	s_mov_b64 s[4:5], 0
.LBB16_217:
	s_andn2_b64 vcc, exec, s[4:5]
	s_cbranch_vccnz .LBB16_228
; %bb.218:
	v_cmp_gt_i16_e32 vcc, 6, v46
	s_cbranch_vccnz .LBB16_221
; %bb.219:
	v_cmp_lt_i16_e32 vcc, 6, v46
	s_cbranch_vccz .LBB16_222
; %bb.220:
	global_load_dwordx2 v[0:1], v[2:3], off
	s_mov_b64 s[4:5], 0
	s_waitcnt vmcnt(0)
	v_cvt_f32_f64_e32 v0, v[0:1]
	s_branch .LBB16_223
.LBB16_221:
	s_mov_b64 s[4:5], -1
                                        ; implicit-def: $vgpr0
	s_branch .LBB16_226
.LBB16_222:
	s_mov_b64 s[4:5], -1
                                        ; implicit-def: $vgpr0
.LBB16_223:
	s_andn2_b64 vcc, exec, s[4:5]
	s_cbranch_vccnz .LBB16_225
; %bb.224:
	global_load_dword v0, v[2:3], off
.LBB16_225:
	s_mov_b64 s[4:5], 0
.LBB16_226:
	s_andn2_b64 vcc, exec, s[4:5]
	s_cbranch_vccnz .LBB16_228
; %bb.227:
	global_load_ushort v0, v[2:3], off
	s_waitcnt vmcnt(0)
	v_cvt_f32_f16_e32 v0, v0
.LBB16_228:
	s_cbranch_execnz .LBB16_248
.LBB16_229:
	v_cmp_gt_i16_e32 vcc, 2, v46
	s_cbranch_vccnz .LBB16_233
; %bb.230:
	v_cmp_gt_i16_e32 vcc, 3, v46
	s_cbranch_vccnz .LBB16_234
; %bb.231:
	v_cmp_lt_i16_e32 vcc, 3, v46
	s_cbranch_vccz .LBB16_235
; %bb.232:
	global_load_dwordx2 v[0:1], v[2:3], off
	s_mov_b64 s[4:5], 0
	s_waitcnt vmcnt(0)
	v_xor_b32_e32 v5, v0, v1
	v_ffbh_i32_e32 v4, v1
	v_ashrrev_i32_e32 v5, 31, v5
	v_add_u32_e32 v4, -1, v4
	v_add_u32_e32 v5, 32, v5
	v_min_u32_e32 v4, v4, v5
	v_lshlrev_b64 v[0:1], v4, v[0:1]
	v_min_u32_e32 v0, 1, v0
	v_or_b32_e32 v0, v1, v0
	v_cvt_f32_i32_e32 v0, v0
	v_sub_u32_e32 v1, 32, v4
	v_ldexp_f32 v0, v0, v1
	s_branch .LBB16_236
.LBB16_233:
	s_mov_b64 s[4:5], -1
                                        ; implicit-def: $vgpr0
	s_branch .LBB16_242
.LBB16_234:
	s_mov_b64 s[4:5], -1
                                        ; implicit-def: $vgpr0
	s_branch .LBB16_239
.LBB16_235:
	s_mov_b64 s[4:5], -1
                                        ; implicit-def: $vgpr0
.LBB16_236:
	s_andn2_b64 vcc, exec, s[4:5]
	s_cbranch_vccnz .LBB16_238
; %bb.237:
	global_load_dword v0, v[2:3], off
	s_waitcnt vmcnt(0)
	v_cvt_f32_i32_e32 v0, v0
.LBB16_238:
	s_mov_b64 s[4:5], 0
.LBB16_239:
	s_andn2_b64 vcc, exec, s[4:5]
	s_cbranch_vccnz .LBB16_241
; %bb.240:
	global_load_sshort v0, v[2:3], off
	s_waitcnt vmcnt(0)
	v_cvt_f32_i32_e32 v0, v0
.LBB16_241:
	s_mov_b64 s[4:5], 0
.LBB16_242:
	s_andn2_b64 vcc, exec, s[4:5]
	s_cbranch_vccnz .LBB16_248
; %bb.243:
	v_cmp_lt_i16_e32 vcc, 0, v46
	s_cbranch_vccz .LBB16_245
; %bb.244:
	global_load_sbyte v0, v[2:3], off
	s_mov_b64 s[4:5], 0
	s_waitcnt vmcnt(0)
	v_cvt_f32_i32_e32 v0, v0
	s_branch .LBB16_246
.LBB16_245:
	s_mov_b64 s[4:5], -1
                                        ; implicit-def: $vgpr0
.LBB16_246:
	s_andn2_b64 vcc, exec, s[4:5]
	s_cbranch_vccnz .LBB16_248
; %bb.247:
	global_load_ubyte v0, v[2:3], off
	s_waitcnt vmcnt(0)
	v_cvt_f32_ubyte0_e32 v0, v0
.LBB16_248:
	s_branch .LBB16_11
.LBB16_249:
	s_mov_b64 s[4:5], 0
                                        ; implicit-def: $vgpr45
	s_mov_b64 s[6:7], 0
.LBB16_250:
	s_and_b64 s[46:47], s[4:5], exec
	s_and_b64 s[48:49], s[48:49], exec
	s_orn2_b64 s[6:7], s[6:7], exec
.LBB16_251:
	s_or_b64 exec, exec, s[50:51]
	s_mov_b64 s[8:9], 0
	s_mov_b64 s[4:5], 0
                                        ; implicit-def: $vgpr2_vgpr3
                                        ; implicit-def: $vgpr1
	s_and_saveexec_b64 s[50:51], s[6:7]
	s_cbranch_execz .LBB16_260
; %bb.252:
	v_cmp_gt_i32_e32 vcc, s62, v45
	s_mov_b64 s[4:5], -1
	s_mov_b64 s[52:53], s[48:49]
	s_mov_b64 s[54:55], s[46:47]
	s_and_saveexec_b64 s[56:57], vcc
	s_cbranch_execz .LBB16_512
; %bb.253:
	s_waitcnt vmcnt(0)
	v_mul_lo_u32 v0, v45, s41
	v_ashrrev_i32_e32 v1, 31, v0
	v_mov_b32_e32 v3, s39
	v_add_co_u32_e32 v2, vcc, s38, v0
	v_addc_co_u32_e32 v3, vcc, v3, v1, vcc
	v_cmp_gt_i16_e32 vcc, 11, v46
	s_cbranch_vccnz .LBB16_263
; %bb.254:
	v_cmp_lt_i16_e32 vcc, 25, v46
	s_cbranch_vccz .LBB16_272
; %bb.255:
	v_cmp_lt_i16_e32 vcc, 28, v46
	s_cbranch_vccz .LBB16_274
	;; [unrolled: 3-line block ×4, first 2 shown]
; %bb.258:
	v_cmp_eq_u16_e32 vcc, 46, v46
	s_mov_b64 s[6:7], 0
	s_cbranch_vccz .LBB16_284
; %bb.259:
	global_load_dword v0, v[2:3], off
	s_mov_b64 s[52:53], 0
	s_waitcnt vmcnt(0)
	v_lshlrev_b32_e32 v0, 16, v0
	s_branch .LBB16_285
.LBB16_260:
	s_or_b64 exec, exec, s[50:51]
	s_mov_b64 s[50:51], 0
	s_and_saveexec_b64 s[6:7], s[48:49]
	s_cbranch_execnz .LBB16_858
.LBB16_261:
	s_or_b64 exec, exec, s[6:7]
	s_and_saveexec_b64 s[6:7], s[54:55]
	s_xor_b64 s[6:7], exec, s[6:7]
	s_cbranch_execz .LBB16_859
.LBB16_262:
	global_load_ubyte v0, v[2:3], off
	s_or_b64 s[4:5], s[4:5], exec
	s_waitcnt vmcnt(0)
	v_cmp_ne_u16_e32 vcc, 0, v0
	v_cndmask_b32_e64 v1, 0, 1.0, vcc
	s_or_b64 exec, exec, s[6:7]
	s_and_saveexec_b64 s[6:7], s[8:9]
	s_cbranch_execz .LBB16_905
	s_branch .LBB16_860
.LBB16_263:
	s_mov_b64 s[4:5], 0
                                        ; implicit-def: $vgpr0
	s_mov_b64 s[52:53], s[48:49]
	s_cbranch_execnz .LBB16_462
.LBB16_264:
	s_andn2_b64 vcc, exec, s[4:5]
	s_cbranch_vccnz .LBB16_510
.LBB16_265:
	s_getpc_b64 s[4:5]
	s_add_u32 s4, s4, _Z17bessel_j1_forwardIfET_S0_@rel32@lo+4
	s_addc_u32 s5, s5, _Z17bessel_j1_forwardIfET_S0_@rel32@hi+12
	s_swappc_b64 s[30:31], s[4:5]
	v_mul_lo_u32 v1, v45, s40
	v_ashrrev_i32_e32 v3, 31, v1
	v_mov_b32_e32 v4, s37
	v_add_co_u32_e32 v2, vcc, s36, v1
	v_mov_b32_e32 v1, 11
	v_addc_co_u32_e32 v3, vcc, v4, v3, vcc
	v_cmp_lt_i16_sdwa s[4:5], v44, v1 src0_sel:BYTE_0 src1_sel:DWORD
	s_and_b64 vcc, exec, s[4:5]
	s_cbranch_vccnz .LBB16_273
; %bb.266:
	v_mov_b32_e32 v1, 25
	v_cmp_gt_i16_sdwa s[4:5], v44, v1 src0_sel:BYTE_0 src1_sel:DWORD
	s_and_b64 vcc, exec, s[4:5]
	s_cbranch_vccz .LBB16_275
; %bb.267:
	v_mov_b32_e32 v1, 28
	v_cmp_gt_i16_sdwa s[4:5], v44, v1 src0_sel:BYTE_0 src1_sel:DWORD
	s_and_b64 vcc, exec, s[4:5]
	s_cbranch_vccz .LBB16_277
	;; [unrolled: 5-line block ×4, first 2 shown]
; %bb.270:
	v_mov_b32_e32 v1, 46
	v_cmp_eq_u16_sdwa s[6:7], v44, v1 src0_sel:BYTE_0 src1_sel:DWORD
	s_mov_b64 s[8:9], 0
	s_mov_b64 s[4:5], -1
	s_and_b64 vcc, exec, s[6:7]
	s_mov_b64 s[6:7], 0
	s_cbranch_vccz .LBB16_289
; %bb.271:
	v_bfe_u32 v1, v0, 16, 1
	s_movk_i32 s4, 0x7fff
	v_add3_u32 v1, v0, v1, s4
	v_lshrrev_b32_e32 v1, 16, v1
	v_mov_b32_e32 v4, 0x7fc0
	v_cmp_o_f32_e32 vcc, v0, v0
	v_cndmask_b32_e32 v1, v4, v1, vcc
	global_store_dword v[2:3], v1, off
	s_mov_b64 s[6:7], -1
	s_mov_b64 s[4:5], 0
	s_branch .LBB16_289
.LBB16_272:
	s_mov_b64 s[6:7], -1
	s_mov_b64 s[4:5], 0
	s_mov_b64 s[52:53], s[48:49]
                                        ; implicit-def: $vgpr0
	s_branch .LBB16_426
.LBB16_273:
	s_mov_b64 s[8:9], -1
	s_mov_b64 s[6:7], 0
	s_mov_b64 s[4:5], s[46:47]
	s_branch .LBB16_358
.LBB16_274:
	s_mov_b64 s[6:7], -1
	s_mov_b64 s[4:5], 0
	s_mov_b64 s[52:53], s[48:49]
                                        ; implicit-def: $vgpr0
	s_branch .LBB16_407
.LBB16_275:
	s_mov_b64 s[8:9], -1
	s_mov_b64 s[6:7], 0
	s_mov_b64 s[4:5], s[46:47]
	s_branch .LBB16_316
.LBB16_276:
	s_mov_b64 s[6:7], -1
	s_mov_b64 s[4:5], 0
	s_mov_b64 s[52:53], s[48:49]
                                        ; implicit-def: $vgpr0
	s_branch .LBB16_402
.LBB16_277:
	s_mov_b64 s[8:9], -1
	s_mov_b64 s[6:7], 0
	s_mov_b64 s[4:5], s[46:47]
	s_branch .LBB16_299
.LBB16_278:
	s_or_saveexec_b64 s[10:11], s[10:11]
                                        ; implicit-def: $sgpr12
	s_xor_b64 exec, exec, s[10:11]
	s_cbranch_execz .LBB16_54
.LBB16_279:
	s_mov_b32 s12, 0x46000000
	v_add_f32_e64 v1, |v0|, s12
	v_and_b32_e32 v1, 0xff, v1
	v_cmp_ne_u32_e32 vcc, 0, v1
	s_andn2_b64 s[8:9], s[8:9], exec
	s_and_b64 s[14:15], vcc, exec
	s_mov_b32 s12, 0
	s_or_b64 s[8:9], s[8:9], s[14:15]
	s_or_b64 exec, exec, s[10:11]
	v_mov_b32_e32 v4, s12
	s_and_saveexec_b64 s[10:11], s[8:9]
	s_cbranch_execnz .LBB16_55
	s_branch .LBB16_56
.LBB16_280:
	s_mov_b64 s[6:7], -1
	s_mov_b64 s[4:5], 0
	s_mov_b64 s[52:53], s[48:49]
                                        ; implicit-def: $vgpr0
	s_branch .LBB16_285
.LBB16_281:
	s_mov_b64 s[8:9], -1
	s_mov_b64 s[6:7], 0
	s_mov_b64 s[4:5], s[46:47]
	s_branch .LBB16_295
.LBB16_282:
	s_or_saveexec_b64 s[10:11], s[10:11]
                                        ; implicit-def: $sgpr12
	s_xor_b64 exec, exec, s[10:11]
	s_cbranch_execz .LBB16_67
.LBB16_283:
	s_mov_b32 s12, 0x42800000
	v_add_f32_e64 v1, |v0|, s12
	v_and_b32_e32 v1, 0xff, v1
	v_cmp_ne_u32_e32 vcc, 0, v1
	s_andn2_b64 s[8:9], s[8:9], exec
	s_and_b64 s[14:15], vcc, exec
	s_mov_b32 s12, 0
	s_or_b64 s[8:9], s[8:9], s[14:15]
	s_or_b64 exec, exec, s[10:11]
	v_mov_b32_e32 v4, s12
	s_and_saveexec_b64 s[10:11], s[8:9]
	s_cbranch_execnz .LBB16_68
	s_branch .LBB16_69
.LBB16_284:
	s_mov_b64 s[52:53], -1
                                        ; implicit-def: $vgpr0
	s_mov_b64 s[4:5], 0
.LBB16_285:
	s_and_b64 vcc, exec, s[6:7]
	s_cbranch_vccz .LBB16_401
; %bb.286:
	v_cmp_eq_u16_e32 vcc, 44, v46
	s_cbranch_vccz .LBB16_400
; %bb.287:
	global_load_ubyte v0, v[2:3], off
	s_movk_i32 s6, 0xff
	v_mov_b32_e32 v1, 0x7f800001
	v_mov_b32_e32 v4, 0x400000
	s_mov_b64 s[4:5], -1
	s_mov_b64 s[52:53], 0
	s_waitcnt vmcnt(0)
	v_lshlrev_b32_e32 v5, 23, v0
	v_cmp_ne_u32_e32 vcc, s6, v0
	v_cndmask_b32_e32 v1, v1, v5, vcc
	v_cmp_ne_u32_e32 vcc, 0, v0
	v_cndmask_b32_e32 v0, v4, v1, vcc
	s_branch .LBB16_401
.LBB16_288:
	s_mov_b64 s[8:9], -1
	s_mov_b64 s[6:7], 0
	s_mov_b64 s[4:5], s[46:47]
.LBB16_289:
	s_and_b64 vcc, exec, s[8:9]
	s_cbranch_vccz .LBB16_294
; %bb.290:
	v_mov_b32_e32 v1, 44
	v_cmp_eq_u16_sdwa s[8:9], v44, v1 src0_sel:BYTE_0 src1_sel:DWORD
	s_mov_b64 s[4:5], -1
	s_and_b64 vcc, exec, s[8:9]
	s_cbranch_vccz .LBB16_294
; %bb.291:
	v_bfe_u32 v1, v0, 23, 8
	s_movk_i32 s4, 0xff
	v_cmp_ne_u32_e32 vcc, s4, v1
	v_mov_b32_e32 v4, 0xff
	s_and_saveexec_b64 s[6:7], vcc
; %bb.292:
	s_mov_b32 s4, 0x3fffff
	v_and_b32_e32 v5, 0x400000, v0
	v_and_or_b32 v1, v0, s4, v1
	v_cmp_ne_u32_e32 vcc, 0, v5
	v_cmp_ne_u32_e64 s[4:5], 0, v1
	s_and_b64 s[4:5], vcc, s[4:5]
	v_lshrrev_b32_e32 v4, 23, v0
	v_cndmask_b32_e64 v1, 0, 1, s[4:5]
	v_add_u32_e32 v4, v4, v1
; %bb.293:
	s_or_b64 exec, exec, s[6:7]
	s_mov_b64 s[6:7], -1
	s_mov_b64 s[4:5], 0
	global_store_byte v[2:3], v4, off
.LBB16_294:
	s_mov_b64 s[8:9], 0
.LBB16_295:
	s_and_b64 vcc, exec, s[8:9]
	s_cbranch_vccz .LBB16_298
; %bb.296:
	v_mov_b32_e32 v1, 29
	v_cmp_eq_u16_sdwa s[8:9], v44, v1 src0_sel:BYTE_0 src1_sel:DWORD
	s_mov_b64 s[4:5], -1
	s_and_b64 vcc, exec, s[8:9]
	s_cbranch_vccz .LBB16_298
; %bb.297:
	v_trunc_f32_e32 v1, v0
	v_mul_f32_e32 v4, 0x2f800000, v1
	v_floor_f32_e32 v4, v4
	v_fmac_f32_e32 v1, 0xcf800000, v4
	v_cvt_u32_f32_e32 v5, v4
	v_cvt_u32_f32_e32 v4, v1
	s_mov_b64 s[6:7], -1
	s_mov_b64 s[4:5], 0
	s_mov_b64 s[8:9], 0
	global_store_dwordx2 v[2:3], v[4:5], off
	s_branch .LBB16_299
.LBB16_298:
	s_mov_b64 s[8:9], 0
.LBB16_299:
	s_and_b64 vcc, exec, s[8:9]
	s_cbranch_vccz .LBB16_315
; %bb.300:
	v_mov_b32_e32 v1, 27
	v_cmp_lt_i16_sdwa s[8:9], v44, v1 src0_sel:BYTE_0 src1_sel:DWORD
	s_mov_b64 s[6:7], -1
	s_and_b64 vcc, exec, s[8:9]
	s_cbranch_vccnz .LBB16_306
; %bb.301:
	v_cmp_gt_i16_sdwa s[8:9], v44, v1 src0_sel:BYTE_0 src1_sel:DWORD
	v_cvt_u32_f32_e32 v1, v0
	s_and_b64 vcc, exec, s[8:9]
	s_cbranch_vccz .LBB16_303
; %bb.302:
	s_mov_b64 s[6:7], 0
	global_store_dword v[2:3], v1, off
.LBB16_303:
	s_andn2_b64 vcc, exec, s[6:7]
	s_cbranch_vccnz .LBB16_305
; %bb.304:
	global_store_short v[2:3], v1, off
.LBB16_305:
	s_mov_b64 s[6:7], 0
.LBB16_306:
	s_andn2_b64 vcc, exec, s[6:7]
	s_cbranch_vccnz .LBB16_314
; %bb.307:
	v_and_b32_e32 v1, 0x7fffffff, v0
	s_mov_b32 s6, 0x43800000
	v_cmp_gt_u32_e32 vcc, s6, v1
	v_mov_b32_e32 v4, 0x80
	s_and_saveexec_b64 s[6:7], vcc
	s_cbranch_execz .LBB16_313
; %bb.308:
	s_mov_b32 s8, 0x3bffffff
	v_cmp_lt_u32_e32 vcc, s8, v1
	s_mov_b64 s[8:9], 0
                                        ; implicit-def: $vgpr1
	s_and_saveexec_b64 s[10:11], vcc
	s_xor_b64 s[10:11], exec, s[10:11]
	s_cbranch_execz .LBB16_525
; %bb.309:
	v_bfe_u32 v1, v0, 20, 1
	s_mov_b32 s12, 0x487ffff
	v_add3_u32 v1, v0, v1, s12
	s_mov_b64 s[8:9], exec
	v_lshrrev_b32_e32 v1, 20, v1
	s_or_saveexec_b64 s[10:11], s[10:11]
                                        ; implicit-def: $sgpr12
	s_xor_b64 exec, exec, s[10:11]
	s_cbranch_execnz .LBB16_526
.LBB16_310:
	s_or_b64 exec, exec, s[10:11]
	v_mov_b32_e32 v4, s12
	s_and_saveexec_b64 s[10:11], s[8:9]
.LBB16_311:
	v_lshrrev_b32_e32 v4, 24, v0
	s_movk_i32 s8, 0x80
	v_and_or_b32 v4, v4, s8, v1
.LBB16_312:
	s_or_b64 exec, exec, s[10:11]
.LBB16_313:
	s_or_b64 exec, exec, s[6:7]
	global_store_byte v[2:3], v4, off
.LBB16_314:
	s_mov_b64 s[6:7], -1
.LBB16_315:
	s_mov_b64 s[8:9], 0
.LBB16_316:
	s_and_b64 vcc, exec, s[8:9]
	s_cbranch_vccz .LBB16_357
; %bb.317:
	v_mov_b32_e32 v1, 22
	v_cmp_gt_i16_sdwa s[10:11], v44, v1 src0_sel:BYTE_0 src1_sel:DWORD
	s_mov_b64 s[8:9], -1
	s_and_b64 vcc, exec, s[10:11]
	s_cbranch_vccz .LBB16_349
; %bb.318:
	v_mov_b32_e32 v1, 24
	v_cmp_lt_i16_sdwa s[8:9], v44, v1 src0_sel:BYTE_0 src1_sel:DWORD
	s_mov_b64 s[6:7], -1
	s_and_b64 vcc, exec, s[8:9]
	s_cbranch_vccnz .LBB16_338
; %bb.319:
	v_cmp_gt_i16_sdwa s[8:9], v44, v1 src0_sel:BYTE_0 src1_sel:DWORD
	s_and_b64 vcc, exec, s[8:9]
	s_cbranch_vccz .LBB16_327
; %bb.320:
	v_and_b32_e32 v1, 0x7fffffff, v0
	s_mov_b32 s6, 0x47800000
	v_cmp_gt_u32_e32 vcc, s6, v1
	v_mov_b32_e32 v4, 0x80
	s_and_saveexec_b64 s[6:7], vcc
	s_cbranch_execz .LBB16_326
; %bb.321:
	s_mov_b32 s8, 0x37ffffff
	v_cmp_lt_u32_e32 vcc, s8, v1
	s_mov_b64 s[8:9], 0
                                        ; implicit-def: $vgpr1
	s_and_saveexec_b64 s[10:11], vcc
	s_xor_b64 s[10:11], exec, s[10:11]
	s_cbranch_execz .LBB16_528
; %bb.322:
	v_bfe_u32 v1, v0, 21, 1
	s_mov_b32 s12, 0x88fffff
	v_add3_u32 v1, v0, v1, s12
	s_mov_b64 s[8:9], exec
	v_lshrrev_b32_e32 v1, 21, v1
	s_or_saveexec_b64 s[10:11], s[10:11]
                                        ; implicit-def: $sgpr12
	s_xor_b64 exec, exec, s[10:11]
	s_cbranch_execnz .LBB16_529
.LBB16_323:
	s_or_b64 exec, exec, s[10:11]
	v_mov_b32_e32 v4, s12
	s_and_saveexec_b64 s[10:11], s[8:9]
.LBB16_324:
	v_lshrrev_b32_e32 v4, 24, v0
	s_movk_i32 s8, 0x80
	v_and_or_b32 v4, v4, s8, v1
.LBB16_325:
	s_or_b64 exec, exec, s[10:11]
.LBB16_326:
	s_or_b64 exec, exec, s[6:7]
	s_mov_b64 s[6:7], 0
	global_store_byte v[2:3], v4, off
.LBB16_327:
	s_and_b64 vcc, exec, s[6:7]
	s_cbranch_vccz .LBB16_337
; %bb.328:
	v_and_b32_e32 v4, 0x7fffffff, v0
	s_mov_b32 s6, 0x43f00000
	v_cmp_gt_u32_e32 vcc, s6, v4
                                        ; implicit-def: $vgpr1
	s_and_saveexec_b64 s[6:7], vcc
	s_xor_b64 s[6:7], exec, s[6:7]
	s_cbranch_execz .LBB16_334
; %bb.329:
	s_mov_b32 s8, 0x3c7fffff
	v_cmp_lt_u32_e32 vcc, s8, v4
                                        ; implicit-def: $vgpr1
	s_and_saveexec_b64 s[8:9], vcc
	s_xor_b64 s[8:9], exec, s[8:9]
; %bb.330:
	v_bfe_u32 v1, v0, 20, 1
	s_mov_b32 s10, 0x407ffff
	v_add3_u32 v1, v0, v1, s10
	v_lshrrev_b32_e32 v4, 20, v1
	v_and_b32_e32 v1, 0xff00000, v1
	s_mov_b32 s10, 0x7f00000
	v_mov_b32_e32 v5, 0x7e
	v_cmp_ne_u32_e32 vcc, s10, v1
	v_cndmask_b32_e32 v1, v5, v4, vcc
; %bb.331:
	s_andn2_saveexec_b64 s[8:9], s[8:9]
; %bb.332:
	s_mov_b32 s10, 0x46800000
	v_add_f32_e64 v1, |v0|, s10
; %bb.333:
	s_or_b64 exec, exec, s[8:9]
                                        ; implicit-def: $vgpr4
.LBB16_334:
	s_andn2_saveexec_b64 s[6:7], s[6:7]
; %bb.335:
	s_mov_b32 s8, 0x7f800000
	v_mov_b32_e32 v1, 0x7e
	v_mov_b32_e32 v5, 0x7f
	v_cmp_lt_u32_e32 vcc, s8, v4
	v_cndmask_b32_e32 v1, v1, v5, vcc
; %bb.336:
	s_or_b64 exec, exec, s[6:7]
	v_lshrrev_b32_e32 v4, 24, v0
	s_movk_i32 s6, 0x80
	v_and_or_b32 v1, v4, s6, v1
	global_store_byte v[2:3], v1, off
.LBB16_337:
	s_mov_b64 s[6:7], 0
.LBB16_338:
	s_andn2_b64 vcc, exec, s[6:7]
	s_cbranch_vccnz .LBB16_348
; %bb.339:
	v_and_b32_e32 v4, 0x7fffffff, v0
	s_mov_b32 s6, 0x47800000
	v_cmp_gt_u32_e32 vcc, s6, v4
                                        ; implicit-def: $vgpr1
	s_and_saveexec_b64 s[6:7], vcc
	s_xor_b64 s[6:7], exec, s[6:7]
	s_cbranch_execz .LBB16_345
; %bb.340:
	s_mov_b32 s8, 0x387fffff
	v_cmp_lt_u32_e32 vcc, s8, v4
                                        ; implicit-def: $vgpr1
	s_and_saveexec_b64 s[8:9], vcc
	s_xor_b64 s[8:9], exec, s[8:9]
; %bb.341:
	v_bfe_u32 v1, v0, 21, 1
	s_mov_b32 s10, 0x80fffff
	v_add3_u32 v1, v0, v1, s10
	v_lshrrev_b32_e32 v1, 21, v1
; %bb.342:
	s_andn2_saveexec_b64 s[8:9], s[8:9]
; %bb.343:
	s_mov_b32 s10, 0x43000000
	v_add_f32_e64 v1, |v0|, s10
; %bb.344:
	s_or_b64 exec, exec, s[8:9]
                                        ; implicit-def: $vgpr4
.LBB16_345:
	s_andn2_saveexec_b64 s[6:7], s[6:7]
; %bb.346:
	s_mov_b32 s8, 0x7f800000
	v_mov_b32_e32 v1, 0x7c
	v_mov_b32_e32 v5, 0x7f
	v_cmp_lt_u32_e32 vcc, s8, v4
	v_cndmask_b32_e32 v1, v1, v5, vcc
; %bb.347:
	s_or_b64 exec, exec, s[6:7]
	v_lshrrev_b32_e32 v4, 24, v0
	s_movk_i32 s6, 0x80
	v_and_or_b32 v1, v4, s6, v1
	global_store_byte v[2:3], v1, off
.LBB16_348:
	s_mov_b64 s[8:9], 0
	s_mov_b64 s[6:7], -1
.LBB16_349:
	s_andn2_b64 vcc, exec, s[8:9]
	s_cbranch_vccnz .LBB16_357
; %bb.350:
	v_mov_b32_e32 v1, 14
	v_cmp_gt_i16_sdwa s[10:11], v44, v1 src0_sel:BYTE_0 src1_sel:DWORD
	s_mov_b64 s[8:9], -1
	s_and_b64 vcc, exec, s[10:11]
	s_cbranch_vccz .LBB16_354
; %bb.351:
	v_mov_b32_e32 v1, 15
	v_cmp_eq_u16_sdwa s[8:9], v44, v1 src0_sel:BYTE_0 src1_sel:DWORD
	s_mov_b64 s[4:5], -1
	s_and_b64 vcc, exec, s[8:9]
	s_cbranch_vccz .LBB16_353
; %bb.352:
	v_bfe_u32 v1, v0, 16, 1
	s_movk_i32 s4, 0x7fff
	v_add3_u32 v1, v0, v1, s4
	v_lshrrev_b32_e32 v1, 16, v1
	v_mov_b32_e32 v4, 0x7fc0
	v_cmp_o_f32_e32 vcc, v0, v0
	v_cndmask_b32_e32 v1, v4, v1, vcc
	global_store_short v[2:3], v1, off
	s_mov_b64 s[6:7], -1
	s_mov_b64 s[4:5], 0
.LBB16_353:
	s_mov_b64 s[8:9], 0
.LBB16_354:
	s_and_b64 vcc, exec, s[8:9]
	s_cbranch_vccz .LBB16_357
; %bb.355:
	v_mov_b32_e32 v1, 11
	v_cmp_eq_u16_sdwa s[8:9], v44, v1 src0_sel:BYTE_0 src1_sel:DWORD
	s_mov_b64 s[4:5], -1
	s_and_b64 vcc, exec, s[8:9]
	s_cbranch_vccz .LBB16_357
; %bb.356:
	v_cmp_neq_f32_e32 vcc, 0, v0
	v_cndmask_b32_e64 v1, 0, 1, vcc
	s_mov_b64 s[6:7], -1
	s_mov_b64 s[4:5], 0
	global_store_byte v[2:3], v1, off
.LBB16_357:
	s_mov_b64 s[8:9], 0
.LBB16_358:
	s_and_b64 vcc, exec, s[8:9]
	s_cbranch_vccz .LBB16_397
; %bb.359:
	v_mov_b32_e32 v1, 5
	v_cmp_lt_i16_sdwa s[8:9], v44, v1 src0_sel:BYTE_0 src1_sel:DWORD
	s_mov_b64 s[6:7], -1
	s_and_b64 vcc, exec, s[8:9]
	s_cbranch_vccnz .LBB16_380
; %bb.360:
	v_mov_b32_e32 v1, 8
	v_cmp_lt_i16_sdwa s[8:9], v44, v1 src0_sel:BYTE_0 src1_sel:DWORD
	s_and_b64 vcc, exec, s[8:9]
	s_cbranch_vccnz .LBB16_370
; %bb.361:
	v_mov_b32_e32 v1, 9
	v_cmp_lt_i16_sdwa s[8:9], v44, v1 src0_sel:BYTE_0 src1_sel:DWORD
	s_and_b64 vcc, exec, s[8:9]
	s_cbranch_vccnz .LBB16_367
; %bb.362:
	v_cmp_gt_i16_sdwa s[8:9], v44, v1 src0_sel:BYTE_0 src1_sel:DWORD
	s_and_b64 vcc, exec, s[8:9]
	s_cbranch_vccz .LBB16_364
; %bb.363:
	v_mov_b32_e32 v6, 0
	v_cvt_f64_f32_e32 v[4:5], v0
	v_mov_b32_e32 v7, v6
	s_mov_b64 s[6:7], 0
	global_store_dwordx4 v[2:3], v[4:7], off
.LBB16_364:
	s_andn2_b64 vcc, exec, s[6:7]
	s_cbranch_vccnz .LBB16_366
; %bb.365:
	v_mov_b32_e32 v1, 0
	global_store_dwordx2 v[2:3], v[0:1], off
.LBB16_366:
	s_mov_b64 s[6:7], 0
.LBB16_367:
	s_andn2_b64 vcc, exec, s[6:7]
	s_cbranch_vccnz .LBB16_369
; %bb.368:
	v_cvt_f16_f32_e32 v1, v0
	global_store_dword v[2:3], v1, off
.LBB16_369:
	s_mov_b64 s[6:7], 0
.LBB16_370:
	s_andn2_b64 vcc, exec, s[6:7]
	s_cbranch_vccnz .LBB16_379
; %bb.371:
	v_mov_b32_e32 v1, 6
	v_cmp_lt_i16_sdwa s[8:9], v44, v1 src0_sel:BYTE_0 src1_sel:DWORD
	s_mov_b64 s[6:7], -1
	s_and_b64 vcc, exec, s[8:9]
	s_cbranch_vccnz .LBB16_377
; %bb.372:
	v_cmp_gt_i16_sdwa s[8:9], v44, v1 src0_sel:BYTE_0 src1_sel:DWORD
	s_and_b64 vcc, exec, s[8:9]
	s_cbranch_vccz .LBB16_374
; %bb.373:
	v_cvt_f64_f32_e32 v[4:5], v0
	s_mov_b64 s[6:7], 0
	global_store_dwordx2 v[2:3], v[4:5], off
.LBB16_374:
	s_andn2_b64 vcc, exec, s[6:7]
	s_cbranch_vccnz .LBB16_376
; %bb.375:
	global_store_dword v[2:3], v0, off
.LBB16_376:
	s_mov_b64 s[6:7], 0
.LBB16_377:
	s_andn2_b64 vcc, exec, s[6:7]
	s_cbranch_vccnz .LBB16_379
; %bb.378:
	v_cvt_f16_f32_e32 v1, v0
	global_store_short v[2:3], v1, off
.LBB16_379:
	s_mov_b64 s[6:7], 0
.LBB16_380:
	s_andn2_b64 vcc, exec, s[6:7]
	s_cbranch_vccnz .LBB16_396
; %bb.381:
	v_mov_b32_e32 v1, 2
	v_cmp_lt_i16_sdwa s[8:9], v44, v1 src0_sel:BYTE_0 src1_sel:DWORD
	s_mov_b64 s[6:7], -1
	s_and_b64 vcc, exec, s[8:9]
	s_cbranch_vccnz .LBB16_391
; %bb.382:
	v_mov_b32_e32 v1, 3
	v_cmp_lt_i16_sdwa s[8:9], v44, v1 src0_sel:BYTE_0 src1_sel:DWORD
	s_and_b64 vcc, exec, s[8:9]
	s_cbranch_vccnz .LBB16_388
; %bb.383:
	v_cmp_gt_i16_sdwa s[8:9], v44, v1 src0_sel:BYTE_0 src1_sel:DWORD
	s_and_b64 vcc, exec, s[8:9]
	s_cbranch_vccz .LBB16_385
; %bb.384:
	v_trunc_f32_e32 v1, v0
	s_mov_b32 s6, 0x2f800000
	v_mul_f32_e64 v4, |v1|, s6
	v_floor_f32_e32 v4, v4
	s_mov_b32 s6, 0xcf800000
	v_cvt_u32_f32_e32 v5, v4
	v_fma_f32 v4, v4, s6, |v1|
	v_cvt_u32_f32_e32 v4, v4
	v_ashrrev_i32_e32 v1, 31, v1
	v_xor_b32_e32 v5, v5, v1
	s_mov_b64 s[6:7], 0
	v_xor_b32_e32 v4, v4, v1
	v_sub_co_u32_e32 v4, vcc, v4, v1
	v_subb_co_u32_e32 v5, vcc, v5, v1, vcc
	global_store_dwordx2 v[2:3], v[4:5], off
.LBB16_385:
	s_andn2_b64 vcc, exec, s[6:7]
	s_cbranch_vccnz .LBB16_387
; %bb.386:
	v_cvt_i32_f32_e32 v1, v0
	global_store_dword v[2:3], v1, off
.LBB16_387:
	s_mov_b64 s[6:7], 0
.LBB16_388:
	s_andn2_b64 vcc, exec, s[6:7]
	s_cbranch_vccnz .LBB16_390
; %bb.389:
	v_cvt_i32_f32_e32 v1, v0
	global_store_short v[2:3], v1, off
.LBB16_390:
	s_mov_b64 s[6:7], 0
.LBB16_391:
	s_andn2_b64 vcc, exec, s[6:7]
	s_cbranch_vccnz .LBB16_396
; %bb.392:
	v_mov_b32_e32 v1, 0
	v_cmp_gt_i16_sdwa s[8:9], v44, v1 src0_sel:BYTE_0 src1_sel:DWORD
	s_mov_b64 s[6:7], -1
	s_and_b64 vcc, exec, s[8:9]
	s_cbranch_vccz .LBB16_394
; %bb.393:
	v_cvt_i32_f32_e32 v1, v0
	s_mov_b64 s[6:7], 0
	global_store_byte v[2:3], v1, off
.LBB16_394:
	s_andn2_b64 vcc, exec, s[6:7]
	s_cbranch_vccnz .LBB16_396
; %bb.395:
	v_trunc_f32_e32 v0, v0
	s_mov_b32 s6, 0x2f800000
	v_mul_f32_e64 v1, |v0|, s6
	v_floor_f32_e32 v1, v1
	s_mov_b32 s6, 0xcf800000
	v_fma_f32 v1, v1, s6, |v0|
	v_cvt_u32_f32_e32 v1, v1
	v_ashrrev_i32_e32 v0, 31, v0
	v_xor_b32_e32 v1, v1, v0
	v_sub_u32_e32 v0, v1, v0
	global_store_byte v[2:3], v0, off
.LBB16_396:
	s_mov_b64 s[6:7], -1
.LBB16_397:
	s_andn2_b64 vcc, exec, s[6:7]
	s_cbranch_vccnz .LBB16_399
; %bb.398:
	v_add_u32_e32 v45, 0x80, v45
	s_mov_b64 s[6:7], -1
	s_branch .LBB16_511
.LBB16_399:
	s_mov_b64 s[6:7], 0
                                        ; implicit-def: $vgpr45
	s_branch .LBB16_511
.LBB16_400:
	s_mov_b64 s[52:53], -1
                                        ; implicit-def: $vgpr0
.LBB16_401:
	s_mov_b64 s[6:7], 0
.LBB16_402:
	s_and_b64 vcc, exec, s[6:7]
	s_cbranch_vccz .LBB16_406
; %bb.403:
	v_cmp_eq_u16_e32 vcc, 29, v46
	s_cbranch_vccz .LBB16_405
; %bb.404:
	global_load_dwordx2 v[0:1], v[2:3], off
	s_mov_b64 s[4:5], -1
	s_mov_b64 s[52:53], 0
	s_mov_b64 s[6:7], 0
	s_waitcnt vmcnt(0)
	v_ffbh_u32_e32 v4, v1
	v_min_u32_e32 v4, 32, v4
	v_lshlrev_b64 v[0:1], v4, v[0:1]
	v_min_u32_e32 v0, 1, v0
	v_or_b32_e32 v0, v1, v0
	v_cvt_f32_u32_e32 v0, v0
	v_sub_u32_e32 v1, 32, v4
	v_ldexp_f32 v0, v0, v1
	s_branch .LBB16_407
.LBB16_405:
	s_mov_b64 s[52:53], -1
                                        ; implicit-def: $vgpr0
.LBB16_406:
	s_mov_b64 s[6:7], 0
.LBB16_407:
	s_and_b64 vcc, exec, s[6:7]
	s_cbranch_vccz .LBB16_425
; %bb.408:
	v_cmp_gt_i16_e32 vcc, 27, v46
	s_cbranch_vccnz .LBB16_411
; %bb.409:
	v_cmp_lt_i16_e32 vcc, 27, v46
	s_cbranch_vccz .LBB16_412
; %bb.410:
	global_load_dword v0, v[2:3], off
	s_mov_b64 s[4:5], 0
	s_waitcnt vmcnt(0)
	v_cvt_f32_u32_e32 v0, v0
	s_branch .LBB16_413
.LBB16_411:
	s_mov_b64 s[4:5], -1
                                        ; implicit-def: $vgpr0
	s_branch .LBB16_416
.LBB16_412:
	s_mov_b64 s[4:5], -1
                                        ; implicit-def: $vgpr0
.LBB16_413:
	s_andn2_b64 vcc, exec, s[4:5]
	s_cbranch_vccnz .LBB16_415
; %bb.414:
	global_load_ushort v0, v[2:3], off
	s_waitcnt vmcnt(0)
	v_cvt_f32_u32_e32 v0, v0
.LBB16_415:
	s_mov_b64 s[4:5], 0
.LBB16_416:
	s_andn2_b64 vcc, exec, s[4:5]
	s_cbranch_vccnz .LBB16_424
; %bb.417:
	global_load_ubyte v1, v[2:3], off
	s_movk_i32 s4, 0x7f
                                        ; implicit-def: $sgpr10
	s_waitcnt vmcnt(0)
	v_cmp_lt_i16_e32 vcc, s4, v1
	s_mov_b64 s[4:5], 0
	s_and_saveexec_b64 s[6:7], vcc
	s_xor_b64 s[6:7], exec, s[6:7]
	s_cbranch_execz .LBB16_438
; %bb.418:
	s_movk_i32 s4, 0x80
	v_cmp_eq_u16_e32 vcc, s4, v1
	s_mov_b64 s[4:5], -1
                                        ; implicit-def: $sgpr10
	s_and_saveexec_b64 s[8:9], vcc
; %bb.419:
	s_mov_b32 s10, 0x7f800001
	s_xor_b64 s[4:5], exec, -1
; %bb.420:
	s_or_b64 exec, exec, s[8:9]
	s_and_b64 s[4:5], s[4:5], exec
	s_or_saveexec_b64 s[6:7], s[6:7]
	v_mov_b32_e32 v0, s10
	s_xor_b64 exec, exec, s[6:7]
	s_cbranch_execnz .LBB16_439
.LBB16_421:
	s_or_b64 exec, exec, s[6:7]
	s_and_saveexec_b64 s[6:7], s[4:5]
	s_cbranch_execz .LBB16_423
.LBB16_422:
	v_lshlrev_b32_e32 v0, 24, v1
	v_and_b32_e32 v1, 0xffff, v1
	v_and_b32_e32 v4, 7, v1
	v_ffbh_u32_e32 v6, v4
	v_min_u32_e32 v6, 32, v6
	v_subrev_u32_e32 v7, 28, v6
	v_bfe_u32 v5, v1, 3, 4
	v_lshlrev_b32_e32 v1, v7, v1
	v_sub_u32_e32 v6, 29, v6
	v_and_b32_e32 v1, 7, v1
	v_cmp_eq_u32_e32 vcc, 0, v5
	v_cndmask_b32_e32 v5, v5, v6, vcc
	v_cndmask_b32_e32 v1, v4, v1, vcc
	v_mov_b32_e32 v4, 0x3b800000
	v_lshlrev_b32_e32 v1, 20, v1
	v_and_b32_e32 v0, 0x80000000, v0
	v_lshl_add_u32 v4, v5, 23, v4
	v_or3_b32 v0, v0, v4, v1
.LBB16_423:
	s_or_b64 exec, exec, s[6:7]
.LBB16_424:
	s_mov_b64 s[4:5], -1
.LBB16_425:
	s_mov_b64 s[6:7], 0
.LBB16_426:
	s_and_b64 vcc, exec, s[6:7]
	s_cbranch_vccz .LBB16_461
; %bb.427:
	v_cmp_lt_i16_e32 vcc, 22, v46
	s_cbranch_vccz .LBB16_437
; %bb.428:
	v_cmp_gt_i16_e32 vcc, 24, v46
	s_cbranch_vccnz .LBB16_440
; %bb.429:
	v_cmp_lt_i16_e32 vcc, 24, v46
	s_cbranch_vccz .LBB16_441
; %bb.430:
	global_load_ubyte v1, v[2:3], off
	s_movk_i32 s4, 0x7f
                                        ; implicit-def: $sgpr10
	s_waitcnt vmcnt(0)
	v_cmp_lt_i16_e32 vcc, s4, v1
	s_mov_b64 s[4:5], 0
	s_and_saveexec_b64 s[6:7], vcc
	s_xor_b64 s[6:7], exec, s[6:7]
	s_cbranch_execz .LBB16_453
; %bb.431:
	s_movk_i32 s4, 0x80
	v_cmp_eq_u16_e32 vcc, s4, v1
	s_mov_b64 s[4:5], -1
                                        ; implicit-def: $sgpr10
	s_and_saveexec_b64 s[8:9], vcc
; %bb.432:
	s_mov_b32 s10, 0x7f800001
	s_xor_b64 s[4:5], exec, -1
; %bb.433:
	s_or_b64 exec, exec, s[8:9]
	s_and_b64 s[4:5], s[4:5], exec
	s_or_saveexec_b64 s[6:7], s[6:7]
	v_mov_b32_e32 v0, s10
	s_xor_b64 exec, exec, s[6:7]
	s_cbranch_execnz .LBB16_454
.LBB16_434:
	s_or_b64 exec, exec, s[6:7]
	s_and_saveexec_b64 s[6:7], s[4:5]
	s_cbranch_execz .LBB16_436
.LBB16_435:
	v_lshlrev_b32_e32 v0, 24, v1
	v_and_b32_e32 v1, 0xffff, v1
	v_and_b32_e32 v4, 3, v1
	v_ffbh_u32_e32 v6, v4
	v_min_u32_e32 v6, 32, v6
	v_subrev_u32_e32 v7, 29, v6
	v_bfe_u32 v5, v1, 2, 5
	v_lshlrev_b32_e32 v1, v7, v1
	v_sub_u32_e32 v6, 30, v6
	v_and_b32_e32 v1, 3, v1
	v_cmp_eq_u32_e32 vcc, 0, v5
	v_cndmask_b32_e32 v5, v5, v6, vcc
	v_cndmask_b32_e32 v1, v4, v1, vcc
	v_mov_b32_e32 v4, 0x37800000
	v_lshlrev_b32_e32 v1, 21, v1
	v_and_b32_e32 v0, 0x80000000, v0
	v_lshl_add_u32 v4, v5, 23, v4
	v_or3_b32 v0, v0, v4, v1
.LBB16_436:
	s_or_b64 exec, exec, s[6:7]
	s_mov_b64 s[4:5], 0
	s_branch .LBB16_442
.LBB16_437:
	s_mov_b64 s[6:7], -1
                                        ; implicit-def: $vgpr0
	s_branch .LBB16_448
.LBB16_438:
	s_or_saveexec_b64 s[6:7], s[6:7]
	v_mov_b32_e32 v0, s10
	s_xor_b64 exec, exec, s[6:7]
	s_cbranch_execz .LBB16_421
.LBB16_439:
	v_cmp_ne_u16_e32 vcc, 0, v1
	s_andn2_b64 s[4:5], s[4:5], exec
	s_and_b64 s[8:9], vcc, exec
	v_mov_b32_e32 v0, 0
	s_or_b64 s[4:5], s[4:5], s[8:9]
	s_or_b64 exec, exec, s[6:7]
	s_and_saveexec_b64 s[6:7], s[4:5]
	s_cbranch_execnz .LBB16_422
	s_branch .LBB16_423
.LBB16_440:
	s_mov_b64 s[4:5], -1
                                        ; implicit-def: $vgpr0
	s_branch .LBB16_445
.LBB16_441:
	s_mov_b64 s[4:5], -1
                                        ; implicit-def: $vgpr0
.LBB16_442:
	s_and_b64 vcc, exec, s[4:5]
	s_cbranch_vccz .LBB16_444
; %bb.443:
	global_load_ubyte v0, v[2:3], off
	s_mov_b32 s4, 0x7f800000
	s_waitcnt vmcnt(0)
	v_lshlrev_b32_e32 v0, 24, v0
	v_and_b32_e32 v1, 0x7f000000, v0
	v_ffbh_u32_e32 v4, v1
	v_min_u32_e32 v4, 32, v4
	v_sub_u32_e64 v4, v4, 4 clamp
	v_lshlrev_b32_e32 v6, v4, v1
	v_lshlrev_b32_e32 v4, 23, v4
	v_lshrrev_b32_e32 v6, 4, v6
	v_add_u32_e32 v5, 0x1000000, v1
	v_sub_u32_e32 v4, v6, v4
	v_ashrrev_i32_e32 v5, 8, v5
	v_add_u32_e32 v4, 0x3c000000, v4
	v_and_or_b32 v4, v5, s4, v4
	v_cmp_ne_u32_e32 vcc, 0, v1
	v_cndmask_b32_e32 v1, 0, v4, vcc
	s_brev_b32 s4, 1
	v_and_or_b32 v0, v0, s4, v1
.LBB16_444:
	s_mov_b64 s[4:5], 0
.LBB16_445:
	s_andn2_b64 vcc, exec, s[4:5]
	s_cbranch_vccnz .LBB16_447
; %bb.446:
	global_load_ubyte v0, v[2:3], off
	s_movk_i32 s4, 0x7f00
	s_brev_b32 s5, 16
	s_waitcnt vmcnt(0)
	v_lshlrev_b16_e32 v1, 8, v0
	v_lshlrev_b32_e32 v0, 25, v0
	v_lshrrev_b32_e32 v4, 4, v0
	v_and_or_b32 v5, v1, s4, 0.5
	v_or_b32_e32 v4, 0x70000000, v4
	v_add_f32_e32 v5, -0.5, v5
	v_mul_f32_e32 v4, 0x7800000, v4
	v_cmp_gt_u32_e32 vcc, s5, v0
	v_bfe_i32 v1, v1, 0, 16
	v_cndmask_b32_e32 v0, v4, v5, vcc
	s_brev_b32 s4, 1
	v_and_or_b32 v0, v1, s4, v0
.LBB16_447:
	s_mov_b64 s[6:7], 0
	s_mov_b64 s[4:5], -1
.LBB16_448:
	s_andn2_b64 vcc, exec, s[6:7]
	s_cbranch_vccnz .LBB16_461
; %bb.449:
	v_cmp_lt_i16_e32 vcc, 14, v46
	s_cbranch_vccz .LBB16_452
; %bb.450:
	v_cmp_eq_u16_e32 vcc, 15, v46
	s_cbranch_vccz .LBB16_455
; %bb.451:
	global_load_ushort v0, v[2:3], off
	s_mov_b64 s[4:5], -1
	s_mov_b64 s[52:53], 0
	s_waitcnt vmcnt(0)
	v_lshlrev_b32_e32 v0, 16, v0
	s_branch .LBB16_456
.LBB16_452:
	s_mov_b64 s[6:7], -1
                                        ; implicit-def: $vgpr0
	s_branch .LBB16_457
.LBB16_453:
	s_or_saveexec_b64 s[6:7], s[6:7]
	v_mov_b32_e32 v0, s10
	s_xor_b64 exec, exec, s[6:7]
	s_cbranch_execz .LBB16_434
.LBB16_454:
	v_cmp_ne_u16_e32 vcc, 0, v1
	s_andn2_b64 s[4:5], s[4:5], exec
	s_and_b64 s[8:9], vcc, exec
	v_mov_b32_e32 v0, 0
	s_or_b64 s[4:5], s[4:5], s[8:9]
	s_or_b64 exec, exec, s[6:7]
	s_and_saveexec_b64 s[6:7], s[4:5]
	s_cbranch_execnz .LBB16_435
	s_branch .LBB16_436
.LBB16_455:
	s_mov_b64 s[52:53], -1
                                        ; implicit-def: $vgpr0
.LBB16_456:
	s_mov_b64 s[6:7], 0
.LBB16_457:
	s_and_b64 vcc, exec, s[6:7]
	s_cbranch_vccz .LBB16_461
; %bb.458:
	v_cmp_eq_u16_e32 vcc, 11, v46
	s_cbranch_vccz .LBB16_460
; %bb.459:
	global_load_ubyte v0, v[2:3], off
	s_mov_b64 s[4:5], -1
	s_mov_b64 s[52:53], 0
	s_waitcnt vmcnt(0)
	v_cmp_ne_u16_e32 vcc, 0, v0
	v_cndmask_b32_e64 v0, 0, 1.0, vcc
	s_branch .LBB16_461
.LBB16_460:
	s_mov_b64 s[52:53], -1
                                        ; implicit-def: $vgpr0
.LBB16_461:
	s_branch .LBB16_264
.LBB16_462:
	v_cmp_gt_i16_e32 vcc, 5, v46
	s_cbranch_vccnz .LBB16_467
; %bb.463:
	v_cmp_gt_i16_e32 vcc, 8, v46
	s_cbranch_vccnz .LBB16_468
; %bb.464:
	;; [unrolled: 3-line block ×3, first 2 shown]
	v_cmp_lt_i16_e32 vcc, 9, v46
	s_cbranch_vccz .LBB16_470
; %bb.466:
	global_load_dwordx2 v[0:1], v[2:3], off
	s_mov_b64 s[4:5], 0
	s_waitcnt vmcnt(0)
	v_cvt_f32_f64_e32 v0, v[0:1]
	s_branch .LBB16_471
.LBB16_467:
	s_mov_b64 s[4:5], -1
                                        ; implicit-def: $vgpr0
	s_branch .LBB16_489
.LBB16_468:
	s_mov_b64 s[4:5], -1
                                        ; implicit-def: $vgpr0
	s_branch .LBB16_477
.LBB16_469:
	s_mov_b64 s[4:5], -1
                                        ; implicit-def: $vgpr0
	s_branch .LBB16_474
.LBB16_470:
	s_mov_b64 s[4:5], -1
                                        ; implicit-def: $vgpr0
.LBB16_471:
	s_andn2_b64 vcc, exec, s[4:5]
	s_cbranch_vccnz .LBB16_473
; %bb.472:
	global_load_dword v0, v[2:3], off
.LBB16_473:
	s_mov_b64 s[4:5], 0
.LBB16_474:
	s_andn2_b64 vcc, exec, s[4:5]
	s_cbranch_vccnz .LBB16_476
; %bb.475:
	global_load_dword v0, v[2:3], off
	s_waitcnt vmcnt(0)
	v_cvt_f32_f16_e32 v0, v0
.LBB16_476:
	s_mov_b64 s[4:5], 0
.LBB16_477:
	s_andn2_b64 vcc, exec, s[4:5]
	s_cbranch_vccnz .LBB16_488
; %bb.478:
	v_cmp_gt_i16_e32 vcc, 6, v46
	s_cbranch_vccnz .LBB16_481
; %bb.479:
	v_cmp_lt_i16_e32 vcc, 6, v46
	s_cbranch_vccz .LBB16_482
; %bb.480:
	global_load_dwordx2 v[0:1], v[2:3], off
	s_mov_b64 s[4:5], 0
	s_waitcnt vmcnt(0)
	v_cvt_f32_f64_e32 v0, v[0:1]
	s_branch .LBB16_483
.LBB16_481:
	s_mov_b64 s[4:5], -1
                                        ; implicit-def: $vgpr0
	s_branch .LBB16_486
.LBB16_482:
	s_mov_b64 s[4:5], -1
                                        ; implicit-def: $vgpr0
.LBB16_483:
	s_andn2_b64 vcc, exec, s[4:5]
	s_cbranch_vccnz .LBB16_485
; %bb.484:
	global_load_dword v0, v[2:3], off
.LBB16_485:
	s_mov_b64 s[4:5], 0
.LBB16_486:
	s_andn2_b64 vcc, exec, s[4:5]
	s_cbranch_vccnz .LBB16_488
; %bb.487:
	global_load_ushort v0, v[2:3], off
	s_waitcnt vmcnt(0)
	v_cvt_f32_f16_e32 v0, v0
.LBB16_488:
	s_mov_b64 s[4:5], 0
.LBB16_489:
	s_andn2_b64 vcc, exec, s[4:5]
	s_cbranch_vccnz .LBB16_509
; %bb.490:
	v_cmp_gt_i16_e32 vcc, 2, v46
	s_cbranch_vccnz .LBB16_494
; %bb.491:
	v_cmp_gt_i16_e32 vcc, 3, v46
	s_cbranch_vccnz .LBB16_495
; %bb.492:
	v_cmp_lt_i16_e32 vcc, 3, v46
	s_cbranch_vccz .LBB16_496
; %bb.493:
	global_load_dwordx2 v[0:1], v[2:3], off
	s_mov_b64 s[4:5], 0
	s_waitcnt vmcnt(0)
	v_xor_b32_e32 v5, v0, v1
	v_ffbh_i32_e32 v4, v1
	v_ashrrev_i32_e32 v5, 31, v5
	v_add_u32_e32 v4, -1, v4
	v_add_u32_e32 v5, 32, v5
	v_min_u32_e32 v4, v4, v5
	v_lshlrev_b64 v[0:1], v4, v[0:1]
	v_min_u32_e32 v0, 1, v0
	v_or_b32_e32 v0, v1, v0
	v_cvt_f32_i32_e32 v0, v0
	v_sub_u32_e32 v1, 32, v4
	v_ldexp_f32 v0, v0, v1
	s_branch .LBB16_497
.LBB16_494:
	s_mov_b64 s[4:5], -1
                                        ; implicit-def: $vgpr0
	s_branch .LBB16_503
.LBB16_495:
	s_mov_b64 s[4:5], -1
                                        ; implicit-def: $vgpr0
	s_branch .LBB16_500
.LBB16_496:
	s_mov_b64 s[4:5], -1
                                        ; implicit-def: $vgpr0
.LBB16_497:
	s_andn2_b64 vcc, exec, s[4:5]
	s_cbranch_vccnz .LBB16_499
; %bb.498:
	global_load_dword v0, v[2:3], off
	s_waitcnt vmcnt(0)
	v_cvt_f32_i32_e32 v0, v0
.LBB16_499:
	s_mov_b64 s[4:5], 0
.LBB16_500:
	s_andn2_b64 vcc, exec, s[4:5]
	s_cbranch_vccnz .LBB16_502
; %bb.501:
	global_load_sshort v0, v[2:3], off
	s_waitcnt vmcnt(0)
	v_cvt_f32_i32_e32 v0, v0
.LBB16_502:
	s_mov_b64 s[4:5], 0
.LBB16_503:
	s_andn2_b64 vcc, exec, s[4:5]
	s_cbranch_vccnz .LBB16_509
; %bb.504:
	v_cmp_lt_i16_e32 vcc, 0, v46
	s_cbranch_vccz .LBB16_506
; %bb.505:
	global_load_sbyte v0, v[2:3], off
	s_mov_b64 s[4:5], 0
	s_waitcnt vmcnt(0)
	v_cvt_f32_i32_e32 v0, v0
	s_branch .LBB16_507
.LBB16_506:
	s_mov_b64 s[4:5], -1
                                        ; implicit-def: $vgpr0
.LBB16_507:
	s_andn2_b64 vcc, exec, s[4:5]
	s_cbranch_vccnz .LBB16_509
; %bb.508:
	global_load_ubyte v0, v[2:3], off
	s_waitcnt vmcnt(0)
	v_cvt_f32_ubyte0_e32 v0, v0
.LBB16_509:
	s_branch .LBB16_265
.LBB16_510:
	s_mov_b64 s[6:7], 0
                                        ; implicit-def: $vgpr45
	s_mov_b64 s[4:5], s[46:47]
.LBB16_511:
	s_andn2_b64 s[8:9], s[46:47], exec
	s_and_b64 s[4:5], s[4:5], exec
	s_or_b64 s[54:55], s[8:9], s[4:5]
	s_andn2_b64 s[4:5], s[48:49], exec
	s_and_b64 s[8:9], s[52:53], exec
	s_or_b64 s[52:53], s[4:5], s[8:9]
	s_orn2_b64 s[4:5], s[6:7], exec
.LBB16_512:
	s_or_b64 exec, exec, s[56:57]
	s_mov_b64 s[6:7], 0
	s_mov_b64 s[8:9], 0
	;; [unrolled: 1-line block ×3, first 2 shown]
                                        ; implicit-def: $vgpr2_vgpr3
                                        ; implicit-def: $vgpr1
	s_and_saveexec_b64 s[56:57], s[4:5]
	s_cbranch_execz .LBB16_857
; %bb.513:
	v_cmp_gt_i32_e32 vcc, s62, v45
	s_mov_b64 s[14:15], -1
	s_mov_b64 s[4:5], s[52:53]
	s_mov_b64 s[6:7], s[54:55]
	s_and_saveexec_b64 s[58:59], vcc
	s_cbranch_execz .LBB16_771
; %bb.514:
	s_waitcnt vmcnt(0)
	v_mul_lo_u32 v0, v45, s41
	v_ashrrev_i32_e32 v1, 31, v0
	v_mov_b32_e32 v3, s39
	v_add_co_u32_e32 v2, vcc, s38, v0
	v_addc_co_u32_e32 v3, vcc, v3, v1, vcc
	v_cmp_gt_i16_e32 vcc, 11, v46
	s_cbranch_vccnz .LBB16_521
; %bb.515:
	v_cmp_lt_i16_e32 vcc, 25, v46
	s_cbranch_vccz .LBB16_522
; %bb.516:
	v_cmp_lt_i16_e32 vcc, 28, v46
	s_cbranch_vccz .LBB16_523
; %bb.517:
	v_cmp_lt_i16_e32 vcc, 43, v46
	s_cbranch_vccz .LBB16_524
; %bb.518:
	v_cmp_lt_i16_e32 vcc, 45, v46
	s_cbranch_vccz .LBB16_527
; %bb.519:
	v_cmp_eq_u16_e32 vcc, 46, v46
	s_mov_b64 s[6:7], 0
	s_cbranch_vccz .LBB16_530
; %bb.520:
	global_load_dword v0, v[2:3], off
	s_mov_b64 s[4:5], -1
	s_mov_b64 s[60:61], 0
	s_waitcnt vmcnt(0)
	v_lshlrev_b32_e32 v0, 16, v0
	s_branch .LBB16_531
.LBB16_521:
	s_mov_b64 s[6:7], -1
	s_mov_b64 s[4:5], 0
                                        ; implicit-def: $vgpr0
	s_mov_b64 s[60:61], s[52:53]
	s_branch .LBB16_596
.LBB16_522:
	s_mov_b64 s[6:7], -1
	s_mov_b64 s[4:5], 0
	s_mov_b64 s[60:61], s[52:53]
                                        ; implicit-def: $vgpr0
	s_branch .LBB16_560
.LBB16_523:
	s_mov_b64 s[6:7], -1
	s_mov_b64 s[4:5], 0
	s_mov_b64 s[60:61], s[52:53]
                                        ; implicit-def: $vgpr0
	s_branch .LBB16_541
.LBB16_524:
	s_mov_b64 s[6:7], -1
	s_mov_b64 s[4:5], 0
	s_mov_b64 s[60:61], s[52:53]
                                        ; implicit-def: $vgpr0
	s_branch .LBB16_536
.LBB16_525:
	s_or_saveexec_b64 s[10:11], s[10:11]
                                        ; implicit-def: $sgpr12
	s_xor_b64 exec, exec, s[10:11]
	s_cbranch_execz .LBB16_310
.LBB16_526:
	s_mov_b32 s12, 0x46000000
	v_add_f32_e64 v1, |v0|, s12
	v_and_b32_e32 v1, 0xff, v1
	v_cmp_ne_u32_e32 vcc, 0, v1
	s_andn2_b64 s[8:9], s[8:9], exec
	s_and_b64 s[14:15], vcc, exec
	s_mov_b32 s12, 0
	s_or_b64 s[8:9], s[8:9], s[14:15]
	s_or_b64 exec, exec, s[10:11]
	v_mov_b32_e32 v4, s12
	s_and_saveexec_b64 s[10:11], s[8:9]
	s_cbranch_execnz .LBB16_311
	s_branch .LBB16_312
.LBB16_527:
	s_mov_b64 s[6:7], -1
	s_mov_b64 s[4:5], 0
	s_mov_b64 s[60:61], s[52:53]
                                        ; implicit-def: $vgpr0
	s_branch .LBB16_531
.LBB16_528:
	s_or_saveexec_b64 s[10:11], s[10:11]
                                        ; implicit-def: $sgpr12
	s_xor_b64 exec, exec, s[10:11]
	s_cbranch_execz .LBB16_323
.LBB16_529:
	s_mov_b32 s12, 0x42800000
	v_add_f32_e64 v1, |v0|, s12
	v_and_b32_e32 v1, 0xff, v1
	v_cmp_ne_u32_e32 vcc, 0, v1
	s_andn2_b64 s[8:9], s[8:9], exec
	s_and_b64 s[14:15], vcc, exec
	s_mov_b32 s12, 0
	s_or_b64 s[8:9], s[8:9], s[14:15]
	s_or_b64 exec, exec, s[10:11]
	v_mov_b32_e32 v4, s12
	s_and_saveexec_b64 s[10:11], s[8:9]
	s_cbranch_execnz .LBB16_324
	s_branch .LBB16_325
.LBB16_530:
	s_mov_b64 s[60:61], -1
                                        ; implicit-def: $vgpr0
	s_mov_b64 s[4:5], 0
.LBB16_531:
	s_and_b64 vcc, exec, s[6:7]
	s_cbranch_vccz .LBB16_535
; %bb.532:
	v_cmp_eq_u16_e32 vcc, 44, v46
	s_cbranch_vccz .LBB16_534
; %bb.533:
	global_load_ubyte v0, v[2:3], off
	s_movk_i32 s6, 0xff
	v_mov_b32_e32 v1, 0x7f800001
	v_mov_b32_e32 v4, 0x400000
	s_mov_b64 s[4:5], -1
	s_mov_b64 s[60:61], 0
	s_waitcnt vmcnt(0)
	v_lshlrev_b32_e32 v5, 23, v0
	v_cmp_ne_u32_e32 vcc, s6, v0
	v_cndmask_b32_e32 v1, v1, v5, vcc
	v_cmp_ne_u32_e32 vcc, 0, v0
	v_cndmask_b32_e32 v0, v4, v1, vcc
	s_branch .LBB16_535
.LBB16_534:
	s_mov_b64 s[60:61], -1
                                        ; implicit-def: $vgpr0
.LBB16_535:
	s_mov_b64 s[6:7], 0
.LBB16_536:
	s_and_b64 vcc, exec, s[6:7]
	s_cbranch_vccz .LBB16_540
; %bb.537:
	v_cmp_eq_u16_e32 vcc, 29, v46
	s_cbranch_vccz .LBB16_539
; %bb.538:
	global_load_dwordx2 v[0:1], v[2:3], off
	s_mov_b64 s[4:5], -1
	s_mov_b64 s[60:61], 0
	s_mov_b64 s[6:7], 0
	s_waitcnt vmcnt(0)
	v_ffbh_u32_e32 v4, v1
	v_min_u32_e32 v4, 32, v4
	v_lshlrev_b64 v[0:1], v4, v[0:1]
	v_min_u32_e32 v0, 1, v0
	v_or_b32_e32 v0, v1, v0
	v_cvt_f32_u32_e32 v0, v0
	v_sub_u32_e32 v1, 32, v4
	v_ldexp_f32 v0, v0, v1
	s_branch .LBB16_541
.LBB16_539:
	s_mov_b64 s[60:61], -1
                                        ; implicit-def: $vgpr0
.LBB16_540:
	s_mov_b64 s[6:7], 0
.LBB16_541:
	s_and_b64 vcc, exec, s[6:7]
	s_cbranch_vccz .LBB16_559
; %bb.542:
	v_cmp_gt_i16_e32 vcc, 27, v46
	s_cbranch_vccnz .LBB16_545
; %bb.543:
	v_cmp_lt_i16_e32 vcc, 27, v46
	s_cbranch_vccz .LBB16_546
; %bb.544:
	global_load_dword v0, v[2:3], off
	s_mov_b64 s[4:5], 0
	s_waitcnt vmcnt(0)
	v_cvt_f32_u32_e32 v0, v0
	s_branch .LBB16_547
.LBB16_545:
	s_mov_b64 s[4:5], -1
                                        ; implicit-def: $vgpr0
	s_branch .LBB16_550
.LBB16_546:
	s_mov_b64 s[4:5], -1
                                        ; implicit-def: $vgpr0
.LBB16_547:
	s_andn2_b64 vcc, exec, s[4:5]
	s_cbranch_vccnz .LBB16_549
; %bb.548:
	global_load_ushort v0, v[2:3], off
	s_waitcnt vmcnt(0)
	v_cvt_f32_u32_e32 v0, v0
.LBB16_549:
	s_mov_b64 s[4:5], 0
.LBB16_550:
	s_andn2_b64 vcc, exec, s[4:5]
	s_cbranch_vccnz .LBB16_558
; %bb.551:
	global_load_ubyte v1, v[2:3], off
	s_movk_i32 s4, 0x7f
                                        ; implicit-def: $sgpr10
	s_waitcnt vmcnt(0)
	v_cmp_lt_i16_e32 vcc, s4, v1
	s_mov_b64 s[4:5], 0
	s_and_saveexec_b64 s[6:7], vcc
	s_xor_b64 s[6:7], exec, s[6:7]
	s_cbranch_execz .LBB16_572
; %bb.552:
	s_movk_i32 s4, 0x80
	v_cmp_eq_u16_e32 vcc, s4, v1
	s_mov_b64 s[4:5], -1
                                        ; implicit-def: $sgpr10
	s_and_saveexec_b64 s[8:9], vcc
; %bb.553:
	s_mov_b32 s10, 0x7f800001
	s_xor_b64 s[4:5], exec, -1
; %bb.554:
	s_or_b64 exec, exec, s[8:9]
	s_and_b64 s[4:5], s[4:5], exec
	s_or_saveexec_b64 s[6:7], s[6:7]
	v_mov_b32_e32 v0, s10
	s_xor_b64 exec, exec, s[6:7]
	s_cbranch_execnz .LBB16_573
.LBB16_555:
	s_or_b64 exec, exec, s[6:7]
	s_and_saveexec_b64 s[6:7], s[4:5]
	s_cbranch_execz .LBB16_557
.LBB16_556:
	v_lshlrev_b32_e32 v0, 24, v1
	v_and_b32_e32 v1, 0xffff, v1
	v_and_b32_e32 v4, 7, v1
	v_ffbh_u32_e32 v6, v4
	v_min_u32_e32 v6, 32, v6
	v_subrev_u32_e32 v7, 28, v6
	v_bfe_u32 v5, v1, 3, 4
	v_lshlrev_b32_e32 v1, v7, v1
	v_sub_u32_e32 v6, 29, v6
	v_and_b32_e32 v1, 7, v1
	v_cmp_eq_u32_e32 vcc, 0, v5
	v_cndmask_b32_e32 v5, v5, v6, vcc
	v_cndmask_b32_e32 v1, v4, v1, vcc
	v_mov_b32_e32 v4, 0x3b800000
	v_lshlrev_b32_e32 v1, 20, v1
	v_and_b32_e32 v0, 0x80000000, v0
	v_lshl_add_u32 v4, v5, 23, v4
	v_or3_b32 v0, v0, v4, v1
.LBB16_557:
	s_or_b64 exec, exec, s[6:7]
.LBB16_558:
	s_mov_b64 s[4:5], -1
.LBB16_559:
	s_mov_b64 s[6:7], 0
.LBB16_560:
	s_and_b64 vcc, exec, s[6:7]
	s_cbranch_vccz .LBB16_595
; %bb.561:
	v_cmp_lt_i16_e32 vcc, 22, v46
	s_cbranch_vccz .LBB16_571
; %bb.562:
	v_cmp_gt_i16_e32 vcc, 24, v46
	s_cbranch_vccnz .LBB16_574
; %bb.563:
	v_cmp_lt_i16_e32 vcc, 24, v46
	s_cbranch_vccz .LBB16_575
; %bb.564:
	global_load_ubyte v1, v[2:3], off
	s_movk_i32 s4, 0x7f
                                        ; implicit-def: $sgpr10
	s_waitcnt vmcnt(0)
	v_cmp_lt_i16_e32 vcc, s4, v1
	s_mov_b64 s[4:5], 0
	s_and_saveexec_b64 s[6:7], vcc
	s_xor_b64 s[6:7], exec, s[6:7]
	s_cbranch_execz .LBB16_587
; %bb.565:
	s_movk_i32 s4, 0x80
	v_cmp_eq_u16_e32 vcc, s4, v1
	s_mov_b64 s[4:5], -1
                                        ; implicit-def: $sgpr10
	s_and_saveexec_b64 s[8:9], vcc
; %bb.566:
	s_mov_b32 s10, 0x7f800001
	s_xor_b64 s[4:5], exec, -1
; %bb.567:
	s_or_b64 exec, exec, s[8:9]
	s_and_b64 s[4:5], s[4:5], exec
	s_or_saveexec_b64 s[6:7], s[6:7]
	v_mov_b32_e32 v0, s10
	s_xor_b64 exec, exec, s[6:7]
	s_cbranch_execnz .LBB16_588
.LBB16_568:
	s_or_b64 exec, exec, s[6:7]
	s_and_saveexec_b64 s[6:7], s[4:5]
	s_cbranch_execz .LBB16_570
.LBB16_569:
	v_lshlrev_b32_e32 v0, 24, v1
	v_and_b32_e32 v1, 0xffff, v1
	v_and_b32_e32 v4, 3, v1
	v_ffbh_u32_e32 v6, v4
	v_min_u32_e32 v6, 32, v6
	v_subrev_u32_e32 v7, 29, v6
	v_bfe_u32 v5, v1, 2, 5
	v_lshlrev_b32_e32 v1, v7, v1
	v_sub_u32_e32 v6, 30, v6
	v_and_b32_e32 v1, 3, v1
	v_cmp_eq_u32_e32 vcc, 0, v5
	v_cndmask_b32_e32 v5, v5, v6, vcc
	v_cndmask_b32_e32 v1, v4, v1, vcc
	v_mov_b32_e32 v4, 0x37800000
	v_lshlrev_b32_e32 v1, 21, v1
	v_and_b32_e32 v0, 0x80000000, v0
	v_lshl_add_u32 v4, v5, 23, v4
	v_or3_b32 v0, v0, v4, v1
.LBB16_570:
	s_or_b64 exec, exec, s[6:7]
	s_mov_b64 s[4:5], 0
	s_branch .LBB16_576
.LBB16_571:
	s_mov_b64 s[6:7], -1
                                        ; implicit-def: $vgpr0
	s_branch .LBB16_582
.LBB16_572:
	s_or_saveexec_b64 s[6:7], s[6:7]
	v_mov_b32_e32 v0, s10
	s_xor_b64 exec, exec, s[6:7]
	s_cbranch_execz .LBB16_555
.LBB16_573:
	v_cmp_ne_u16_e32 vcc, 0, v1
	s_andn2_b64 s[4:5], s[4:5], exec
	s_and_b64 s[8:9], vcc, exec
	v_mov_b32_e32 v0, 0
	s_or_b64 s[4:5], s[4:5], s[8:9]
	s_or_b64 exec, exec, s[6:7]
	s_and_saveexec_b64 s[6:7], s[4:5]
	s_cbranch_execnz .LBB16_556
	s_branch .LBB16_557
.LBB16_574:
	s_mov_b64 s[4:5], -1
                                        ; implicit-def: $vgpr0
	s_branch .LBB16_579
.LBB16_575:
	s_mov_b64 s[4:5], -1
                                        ; implicit-def: $vgpr0
.LBB16_576:
	s_and_b64 vcc, exec, s[4:5]
	s_cbranch_vccz .LBB16_578
; %bb.577:
	global_load_ubyte v0, v[2:3], off
	s_mov_b32 s4, 0x7f800000
	s_waitcnt vmcnt(0)
	v_lshlrev_b32_e32 v0, 24, v0
	v_and_b32_e32 v1, 0x7f000000, v0
	v_ffbh_u32_e32 v4, v1
	v_min_u32_e32 v4, 32, v4
	v_sub_u32_e64 v4, v4, 4 clamp
	v_lshlrev_b32_e32 v6, v4, v1
	v_lshlrev_b32_e32 v4, 23, v4
	v_lshrrev_b32_e32 v6, 4, v6
	v_add_u32_e32 v5, 0x1000000, v1
	v_sub_u32_e32 v4, v6, v4
	v_ashrrev_i32_e32 v5, 8, v5
	v_add_u32_e32 v4, 0x3c000000, v4
	v_and_or_b32 v4, v5, s4, v4
	v_cmp_ne_u32_e32 vcc, 0, v1
	v_cndmask_b32_e32 v1, 0, v4, vcc
	s_brev_b32 s4, 1
	v_and_or_b32 v0, v0, s4, v1
.LBB16_578:
	s_mov_b64 s[4:5], 0
.LBB16_579:
	s_andn2_b64 vcc, exec, s[4:5]
	s_cbranch_vccnz .LBB16_581
; %bb.580:
	global_load_ubyte v0, v[2:3], off
	s_movk_i32 s4, 0x7f00
	s_brev_b32 s5, 16
	s_waitcnt vmcnt(0)
	v_lshlrev_b16_e32 v1, 8, v0
	v_lshlrev_b32_e32 v0, 25, v0
	v_lshrrev_b32_e32 v4, 4, v0
	v_and_or_b32 v5, v1, s4, 0.5
	v_or_b32_e32 v4, 0x70000000, v4
	v_add_f32_e32 v5, -0.5, v5
	v_mul_f32_e32 v4, 0x7800000, v4
	v_cmp_gt_u32_e32 vcc, s5, v0
	v_bfe_i32 v1, v1, 0, 16
	v_cndmask_b32_e32 v0, v4, v5, vcc
	s_brev_b32 s4, 1
	v_and_or_b32 v0, v1, s4, v0
.LBB16_581:
	s_mov_b64 s[6:7], 0
	s_mov_b64 s[4:5], -1
.LBB16_582:
	s_andn2_b64 vcc, exec, s[6:7]
	s_cbranch_vccnz .LBB16_595
; %bb.583:
	v_cmp_lt_i16_e32 vcc, 14, v46
	s_cbranch_vccz .LBB16_586
; %bb.584:
	v_cmp_eq_u16_e32 vcc, 15, v46
	s_cbranch_vccz .LBB16_589
; %bb.585:
	global_load_ushort v0, v[2:3], off
	s_mov_b64 s[4:5], -1
	s_mov_b64 s[60:61], 0
	s_waitcnt vmcnt(0)
	v_lshlrev_b32_e32 v0, 16, v0
	s_branch .LBB16_590
.LBB16_586:
	s_mov_b64 s[6:7], -1
                                        ; implicit-def: $vgpr0
	s_branch .LBB16_591
.LBB16_587:
	s_or_saveexec_b64 s[6:7], s[6:7]
	v_mov_b32_e32 v0, s10
	s_xor_b64 exec, exec, s[6:7]
	s_cbranch_execz .LBB16_568
.LBB16_588:
	v_cmp_ne_u16_e32 vcc, 0, v1
	s_andn2_b64 s[4:5], s[4:5], exec
	s_and_b64 s[8:9], vcc, exec
	v_mov_b32_e32 v0, 0
	s_or_b64 s[4:5], s[4:5], s[8:9]
	s_or_b64 exec, exec, s[6:7]
	s_and_saveexec_b64 s[6:7], s[4:5]
	s_cbranch_execnz .LBB16_569
	s_branch .LBB16_570
.LBB16_589:
	s_mov_b64 s[60:61], -1
                                        ; implicit-def: $vgpr0
.LBB16_590:
	s_mov_b64 s[6:7], 0
.LBB16_591:
	s_and_b64 vcc, exec, s[6:7]
	s_cbranch_vccz .LBB16_595
; %bb.592:
	v_cmp_eq_u16_e32 vcc, 11, v46
	s_cbranch_vccz .LBB16_594
; %bb.593:
	global_load_ubyte v0, v[2:3], off
	s_mov_b64 s[4:5], -1
	s_mov_b64 s[60:61], 0
	s_waitcnt vmcnt(0)
	v_cmp_ne_u16_e32 vcc, 0, v0
	v_cndmask_b32_e64 v0, 0, 1.0, vcc
	s_branch .LBB16_595
.LBB16_594:
	s_mov_b64 s[60:61], -1
                                        ; implicit-def: $vgpr0
.LBB16_595:
	s_mov_b64 s[6:7], 0
.LBB16_596:
	s_and_b64 vcc, exec, s[6:7]
	s_cbranch_vccz .LBB16_645
; %bb.597:
	v_cmp_gt_i16_e32 vcc, 5, v46
	s_cbranch_vccnz .LBB16_602
; %bb.598:
	v_cmp_gt_i16_e32 vcc, 8, v46
	s_cbranch_vccnz .LBB16_603
	;; [unrolled: 3-line block ×3, first 2 shown]
; %bb.600:
	v_cmp_lt_i16_e32 vcc, 9, v46
	s_cbranch_vccz .LBB16_605
; %bb.601:
	global_load_dwordx2 v[0:1], v[2:3], off
	s_mov_b64 s[4:5], 0
	s_waitcnt vmcnt(0)
	v_cvt_f32_f64_e32 v0, v[0:1]
	s_branch .LBB16_606
.LBB16_602:
	s_mov_b64 s[4:5], -1
                                        ; implicit-def: $vgpr0
	s_branch .LBB16_624
.LBB16_603:
	s_mov_b64 s[4:5], -1
                                        ; implicit-def: $vgpr0
	s_branch .LBB16_612
.LBB16_604:
	s_mov_b64 s[4:5], -1
                                        ; implicit-def: $vgpr0
	s_branch .LBB16_609
.LBB16_605:
	s_mov_b64 s[4:5], -1
                                        ; implicit-def: $vgpr0
.LBB16_606:
	s_andn2_b64 vcc, exec, s[4:5]
	s_cbranch_vccnz .LBB16_608
; %bb.607:
	global_load_dword v0, v[2:3], off
.LBB16_608:
	s_mov_b64 s[4:5], 0
.LBB16_609:
	s_andn2_b64 vcc, exec, s[4:5]
	s_cbranch_vccnz .LBB16_611
; %bb.610:
	global_load_dword v0, v[2:3], off
	s_waitcnt vmcnt(0)
	v_cvt_f32_f16_e32 v0, v0
.LBB16_611:
	s_mov_b64 s[4:5], 0
.LBB16_612:
	s_andn2_b64 vcc, exec, s[4:5]
	s_cbranch_vccnz .LBB16_623
; %bb.613:
	v_cmp_gt_i16_e32 vcc, 6, v46
	s_cbranch_vccnz .LBB16_616
; %bb.614:
	v_cmp_lt_i16_e32 vcc, 6, v46
	s_cbranch_vccz .LBB16_617
; %bb.615:
	global_load_dwordx2 v[0:1], v[2:3], off
	s_mov_b64 s[4:5], 0
	s_waitcnt vmcnt(0)
	v_cvt_f32_f64_e32 v0, v[0:1]
	s_branch .LBB16_618
.LBB16_616:
	s_mov_b64 s[4:5], -1
                                        ; implicit-def: $vgpr0
	s_branch .LBB16_621
.LBB16_617:
	s_mov_b64 s[4:5], -1
                                        ; implicit-def: $vgpr0
.LBB16_618:
	s_andn2_b64 vcc, exec, s[4:5]
	s_cbranch_vccnz .LBB16_620
; %bb.619:
	global_load_dword v0, v[2:3], off
.LBB16_620:
	s_mov_b64 s[4:5], 0
.LBB16_621:
	s_andn2_b64 vcc, exec, s[4:5]
	s_cbranch_vccnz .LBB16_623
; %bb.622:
	global_load_ushort v0, v[2:3], off
	s_waitcnt vmcnt(0)
	v_cvt_f32_f16_e32 v0, v0
.LBB16_623:
	s_mov_b64 s[4:5], 0
.LBB16_624:
	s_andn2_b64 vcc, exec, s[4:5]
	s_cbranch_vccnz .LBB16_644
; %bb.625:
	v_cmp_gt_i16_e32 vcc, 2, v46
	s_cbranch_vccnz .LBB16_629
; %bb.626:
	v_cmp_gt_i16_e32 vcc, 3, v46
	s_cbranch_vccnz .LBB16_630
; %bb.627:
	v_cmp_lt_i16_e32 vcc, 3, v46
	s_cbranch_vccz .LBB16_631
; %bb.628:
	global_load_dwordx2 v[0:1], v[2:3], off
	s_mov_b64 s[4:5], 0
	s_waitcnt vmcnt(0)
	v_xor_b32_e32 v5, v0, v1
	v_ffbh_i32_e32 v4, v1
	v_ashrrev_i32_e32 v5, 31, v5
	v_add_u32_e32 v4, -1, v4
	v_add_u32_e32 v5, 32, v5
	v_min_u32_e32 v4, v4, v5
	v_lshlrev_b64 v[0:1], v4, v[0:1]
	v_min_u32_e32 v0, 1, v0
	v_or_b32_e32 v0, v1, v0
	v_cvt_f32_i32_e32 v0, v0
	v_sub_u32_e32 v1, 32, v4
	v_ldexp_f32 v0, v0, v1
	s_branch .LBB16_632
.LBB16_629:
	s_mov_b64 s[4:5], -1
                                        ; implicit-def: $vgpr0
	s_branch .LBB16_638
.LBB16_630:
	s_mov_b64 s[4:5], -1
                                        ; implicit-def: $vgpr0
	s_branch .LBB16_635
.LBB16_631:
	s_mov_b64 s[4:5], -1
                                        ; implicit-def: $vgpr0
.LBB16_632:
	s_andn2_b64 vcc, exec, s[4:5]
	s_cbranch_vccnz .LBB16_634
; %bb.633:
	global_load_dword v0, v[2:3], off
	s_waitcnt vmcnt(0)
	v_cvt_f32_i32_e32 v0, v0
.LBB16_634:
	s_mov_b64 s[4:5], 0
.LBB16_635:
	s_andn2_b64 vcc, exec, s[4:5]
	s_cbranch_vccnz .LBB16_637
; %bb.636:
	global_load_sshort v0, v[2:3], off
	s_waitcnt vmcnt(0)
	v_cvt_f32_i32_e32 v0, v0
.LBB16_637:
	s_mov_b64 s[4:5], 0
.LBB16_638:
	s_andn2_b64 vcc, exec, s[4:5]
	s_cbranch_vccnz .LBB16_644
; %bb.639:
	v_cmp_lt_i16_e32 vcc, 0, v46
	s_cbranch_vccz .LBB16_641
; %bb.640:
	global_load_sbyte v0, v[2:3], off
	s_mov_b64 s[4:5], 0
	s_waitcnt vmcnt(0)
	v_cvt_f32_i32_e32 v0, v0
	s_branch .LBB16_642
.LBB16_641:
	s_mov_b64 s[4:5], -1
                                        ; implicit-def: $vgpr0
.LBB16_642:
	s_andn2_b64 vcc, exec, s[4:5]
	s_cbranch_vccnz .LBB16_644
; %bb.643:
	global_load_ubyte v0, v[2:3], off
	s_waitcnt vmcnt(0)
	v_cvt_f32_ubyte0_e32 v0, v0
.LBB16_644:
	s_mov_b64 s[4:5], -1
.LBB16_645:
	s_andn2_b64 vcc, exec, s[4:5]
	s_cbranch_vccnz .LBB16_653
; %bb.646:
	s_getpc_b64 s[4:5]
	s_add_u32 s4, s4, _Z17bessel_j1_forwardIfET_S0_@rel32@lo+4
	s_addc_u32 s5, s5, _Z17bessel_j1_forwardIfET_S0_@rel32@hi+12
	s_swappc_b64 s[30:31], s[4:5]
	v_mul_lo_u32 v1, v45, s40
	v_ashrrev_i32_e32 v3, 31, v1
	v_mov_b32_e32 v4, s37
	v_add_co_u32_e32 v2, vcc, s36, v1
	v_mov_b32_e32 v1, 11
	v_addc_co_u32_e32 v3, vcc, v4, v3, vcc
	v_cmp_lt_i16_sdwa s[4:5], v44, v1 src0_sel:BYTE_0 src1_sel:DWORD
	s_and_b64 vcc, exec, s[4:5]
	s_cbranch_vccnz .LBB16_654
; %bb.647:
	v_mov_b32_e32 v1, 25
	v_cmp_gt_i16_sdwa s[4:5], v44, v1 src0_sel:BYTE_0 src1_sel:DWORD
	s_and_b64 vcc, exec, s[4:5]
	s_cbranch_vccz .LBB16_655
; %bb.648:
	v_mov_b32_e32 v1, 28
	v_cmp_gt_i16_sdwa s[4:5], v44, v1 src0_sel:BYTE_0 src1_sel:DWORD
	s_and_b64 vcc, exec, s[4:5]
	s_cbranch_vccz .LBB16_656
	;; [unrolled: 5-line block ×4, first 2 shown]
; %bb.651:
	v_mov_b32_e32 v1, 46
	v_cmp_eq_u16_sdwa s[6:7], v44, v1 src0_sel:BYTE_0 src1_sel:DWORD
	s_mov_b64 s[8:9], 0
	s_mov_b64 s[4:5], -1
	s_and_b64 vcc, exec, s[6:7]
	s_mov_b64 s[6:7], 0
	s_cbranch_vccz .LBB16_659
; %bb.652:
	v_bfe_u32 v1, v0, 16, 1
	s_movk_i32 s4, 0x7fff
	v_add3_u32 v1, v0, v1, s4
	v_lshrrev_b32_e32 v1, 16, v1
	v_mov_b32_e32 v4, 0x7fc0
	v_cmp_o_f32_e32 vcc, v0, v0
	v_cndmask_b32_e32 v1, v4, v1, vcc
	global_store_dword v[2:3], v1, off
	s_mov_b64 s[6:7], -1
	s_mov_b64 s[4:5], 0
	s_branch .LBB16_659
.LBB16_653:
	s_mov_b64 s[8:9], 0
                                        ; implicit-def: $vgpr45
	s_mov_b64 s[4:5], s[54:55]
	s_branch .LBB16_770
.LBB16_654:
	s_mov_b64 s[8:9], -1
	s_mov_b64 s[6:7], 0
	s_mov_b64 s[4:5], s[54:55]
	s_branch .LBB16_728
.LBB16_655:
	s_mov_b64 s[8:9], -1
	s_mov_b64 s[6:7], 0
	s_mov_b64 s[4:5], s[54:55]
	s_branch .LBB16_686
.LBB16_656:
	s_mov_b64 s[8:9], -1
	s_mov_b64 s[6:7], 0
	s_mov_b64 s[4:5], s[54:55]
	s_branch .LBB16_669
.LBB16_657:
	s_mov_b64 s[8:9], -1
	s_mov_b64 s[6:7], 0
	s_mov_b64 s[4:5], s[54:55]
	s_branch .LBB16_665
.LBB16_658:
	s_mov_b64 s[8:9], -1
	s_mov_b64 s[6:7], 0
	s_mov_b64 s[4:5], s[54:55]
.LBB16_659:
	s_and_b64 vcc, exec, s[8:9]
	s_cbranch_vccz .LBB16_664
; %bb.660:
	v_mov_b32_e32 v1, 44
	v_cmp_eq_u16_sdwa s[8:9], v44, v1 src0_sel:BYTE_0 src1_sel:DWORD
	s_mov_b64 s[4:5], -1
	s_and_b64 vcc, exec, s[8:9]
	s_cbranch_vccz .LBB16_664
; %bb.661:
	v_bfe_u32 v1, v0, 23, 8
	s_movk_i32 s4, 0xff
	v_cmp_ne_u32_e32 vcc, s4, v1
	v_mov_b32_e32 v4, 0xff
	s_and_saveexec_b64 s[6:7], vcc
; %bb.662:
	s_mov_b32 s4, 0x3fffff
	v_and_b32_e32 v5, 0x400000, v0
	v_and_or_b32 v1, v0, s4, v1
	v_cmp_ne_u32_e32 vcc, 0, v5
	v_cmp_ne_u32_e64 s[4:5], 0, v1
	s_and_b64 s[4:5], vcc, s[4:5]
	v_lshrrev_b32_e32 v4, 23, v0
	v_cndmask_b32_e64 v1, 0, 1, s[4:5]
	v_add_u32_e32 v4, v4, v1
; %bb.663:
	s_or_b64 exec, exec, s[6:7]
	s_mov_b64 s[6:7], -1
	s_mov_b64 s[4:5], 0
	global_store_byte v[2:3], v4, off
.LBB16_664:
	s_mov_b64 s[8:9], 0
.LBB16_665:
	s_and_b64 vcc, exec, s[8:9]
	s_cbranch_vccz .LBB16_668
; %bb.666:
	v_mov_b32_e32 v1, 29
	v_cmp_eq_u16_sdwa s[8:9], v44, v1 src0_sel:BYTE_0 src1_sel:DWORD
	s_mov_b64 s[4:5], -1
	s_and_b64 vcc, exec, s[8:9]
	s_cbranch_vccz .LBB16_668
; %bb.667:
	v_trunc_f32_e32 v1, v0
	v_mul_f32_e32 v4, 0x2f800000, v1
	v_floor_f32_e32 v4, v4
	v_fmac_f32_e32 v1, 0xcf800000, v4
	v_cvt_u32_f32_e32 v5, v4
	v_cvt_u32_f32_e32 v4, v1
	s_mov_b64 s[6:7], -1
	s_mov_b64 s[4:5], 0
	s_mov_b64 s[8:9], 0
	global_store_dwordx2 v[2:3], v[4:5], off
	s_branch .LBB16_669
.LBB16_668:
	s_mov_b64 s[8:9], 0
.LBB16_669:
	s_and_b64 vcc, exec, s[8:9]
	s_cbranch_vccz .LBB16_685
; %bb.670:
	v_mov_b32_e32 v1, 27
	v_cmp_lt_i16_sdwa s[8:9], v44, v1 src0_sel:BYTE_0 src1_sel:DWORD
	s_mov_b64 s[6:7], -1
	s_and_b64 vcc, exec, s[8:9]
	s_cbranch_vccnz .LBB16_676
; %bb.671:
	v_cmp_gt_i16_sdwa s[8:9], v44, v1 src0_sel:BYTE_0 src1_sel:DWORD
	v_cvt_u32_f32_e32 v1, v0
	s_and_b64 vcc, exec, s[8:9]
	s_cbranch_vccz .LBB16_673
; %bb.672:
	s_mov_b64 s[6:7], 0
	global_store_dword v[2:3], v1, off
.LBB16_673:
	s_andn2_b64 vcc, exec, s[6:7]
	s_cbranch_vccnz .LBB16_675
; %bb.674:
	global_store_short v[2:3], v1, off
.LBB16_675:
	s_mov_b64 s[6:7], 0
.LBB16_676:
	s_andn2_b64 vcc, exec, s[6:7]
	s_cbranch_vccnz .LBB16_684
; %bb.677:
	v_and_b32_e32 v1, 0x7fffffff, v0
	s_mov_b32 s6, 0x43800000
	v_cmp_gt_u32_e32 vcc, s6, v1
	v_mov_b32_e32 v4, 0x80
	s_and_saveexec_b64 s[6:7], vcc
	s_cbranch_execz .LBB16_683
; %bb.678:
	s_mov_b32 s8, 0x3bffffff
	v_cmp_lt_u32_e32 vcc, s8, v1
	s_mov_b64 s[8:9], 0
                                        ; implicit-def: $vgpr1
	s_and_saveexec_b64 s[10:11], vcc
	s_xor_b64 s[10:11], exec, s[10:11]
	s_cbranch_execz .LBB16_784
; %bb.679:
	v_bfe_u32 v1, v0, 20, 1
	s_mov_b32 s12, 0x487ffff
	v_add3_u32 v1, v0, v1, s12
	s_mov_b64 s[8:9], exec
	v_lshrrev_b32_e32 v1, 20, v1
	s_or_saveexec_b64 s[10:11], s[10:11]
                                        ; implicit-def: $sgpr12
	s_xor_b64 exec, exec, s[10:11]
	s_cbranch_execnz .LBB16_785
.LBB16_680:
	s_or_b64 exec, exec, s[10:11]
	v_mov_b32_e32 v4, s12
	s_and_saveexec_b64 s[10:11], s[8:9]
.LBB16_681:
	v_lshrrev_b32_e32 v4, 24, v0
	s_movk_i32 s8, 0x80
	v_and_or_b32 v4, v4, s8, v1
.LBB16_682:
	s_or_b64 exec, exec, s[10:11]
.LBB16_683:
	s_or_b64 exec, exec, s[6:7]
	global_store_byte v[2:3], v4, off
.LBB16_684:
	s_mov_b64 s[6:7], -1
.LBB16_685:
	s_mov_b64 s[8:9], 0
.LBB16_686:
	s_and_b64 vcc, exec, s[8:9]
	s_cbranch_vccz .LBB16_727
; %bb.687:
	v_mov_b32_e32 v1, 22
	v_cmp_gt_i16_sdwa s[10:11], v44, v1 src0_sel:BYTE_0 src1_sel:DWORD
	s_mov_b64 s[8:9], -1
	s_and_b64 vcc, exec, s[10:11]
	s_cbranch_vccz .LBB16_719
; %bb.688:
	v_mov_b32_e32 v1, 24
	v_cmp_lt_i16_sdwa s[8:9], v44, v1 src0_sel:BYTE_0 src1_sel:DWORD
	s_mov_b64 s[6:7], -1
	s_and_b64 vcc, exec, s[8:9]
	s_cbranch_vccnz .LBB16_708
; %bb.689:
	v_cmp_gt_i16_sdwa s[8:9], v44, v1 src0_sel:BYTE_0 src1_sel:DWORD
	s_and_b64 vcc, exec, s[8:9]
	s_cbranch_vccz .LBB16_697
; %bb.690:
	v_and_b32_e32 v1, 0x7fffffff, v0
	s_mov_b32 s6, 0x47800000
	v_cmp_gt_u32_e32 vcc, s6, v1
	v_mov_b32_e32 v4, 0x80
	s_and_saveexec_b64 s[6:7], vcc
	s_cbranch_execz .LBB16_696
; %bb.691:
	s_mov_b32 s8, 0x37ffffff
	v_cmp_lt_u32_e32 vcc, s8, v1
	s_mov_b64 s[8:9], 0
                                        ; implicit-def: $vgpr1
	s_and_saveexec_b64 s[10:11], vcc
	s_xor_b64 s[10:11], exec, s[10:11]
	s_cbranch_execz .LBB16_787
; %bb.692:
	v_bfe_u32 v1, v0, 21, 1
	s_mov_b32 s12, 0x88fffff
	v_add3_u32 v1, v0, v1, s12
	s_mov_b64 s[8:9], exec
	v_lshrrev_b32_e32 v1, 21, v1
	s_or_saveexec_b64 s[10:11], s[10:11]
                                        ; implicit-def: $sgpr12
	s_xor_b64 exec, exec, s[10:11]
	s_cbranch_execnz .LBB16_788
.LBB16_693:
	s_or_b64 exec, exec, s[10:11]
	v_mov_b32_e32 v4, s12
	s_and_saveexec_b64 s[10:11], s[8:9]
.LBB16_694:
	v_lshrrev_b32_e32 v4, 24, v0
	s_movk_i32 s8, 0x80
	v_and_or_b32 v4, v4, s8, v1
.LBB16_695:
	s_or_b64 exec, exec, s[10:11]
.LBB16_696:
	s_or_b64 exec, exec, s[6:7]
	s_mov_b64 s[6:7], 0
	global_store_byte v[2:3], v4, off
.LBB16_697:
	s_and_b64 vcc, exec, s[6:7]
	s_cbranch_vccz .LBB16_707
; %bb.698:
	v_and_b32_e32 v4, 0x7fffffff, v0
	s_mov_b32 s6, 0x43f00000
	v_cmp_gt_u32_e32 vcc, s6, v4
                                        ; implicit-def: $vgpr1
	s_and_saveexec_b64 s[6:7], vcc
	s_xor_b64 s[6:7], exec, s[6:7]
	s_cbranch_execz .LBB16_704
; %bb.699:
	s_mov_b32 s8, 0x3c7fffff
	v_cmp_lt_u32_e32 vcc, s8, v4
                                        ; implicit-def: $vgpr1
	s_and_saveexec_b64 s[8:9], vcc
	s_xor_b64 s[8:9], exec, s[8:9]
; %bb.700:
	v_bfe_u32 v1, v0, 20, 1
	s_mov_b32 s10, 0x407ffff
	v_add3_u32 v1, v0, v1, s10
	v_lshrrev_b32_e32 v4, 20, v1
	v_and_b32_e32 v1, 0xff00000, v1
	s_mov_b32 s10, 0x7f00000
	v_mov_b32_e32 v5, 0x7e
	v_cmp_ne_u32_e32 vcc, s10, v1
	v_cndmask_b32_e32 v1, v5, v4, vcc
; %bb.701:
	s_andn2_saveexec_b64 s[8:9], s[8:9]
; %bb.702:
	s_mov_b32 s10, 0x46800000
	v_add_f32_e64 v1, |v0|, s10
; %bb.703:
	s_or_b64 exec, exec, s[8:9]
                                        ; implicit-def: $vgpr4
.LBB16_704:
	s_andn2_saveexec_b64 s[6:7], s[6:7]
; %bb.705:
	s_mov_b32 s8, 0x7f800000
	v_mov_b32_e32 v1, 0x7e
	v_mov_b32_e32 v5, 0x7f
	v_cmp_lt_u32_e32 vcc, s8, v4
	v_cndmask_b32_e32 v1, v1, v5, vcc
; %bb.706:
	s_or_b64 exec, exec, s[6:7]
	v_lshrrev_b32_e32 v4, 24, v0
	s_movk_i32 s6, 0x80
	v_and_or_b32 v1, v4, s6, v1
	global_store_byte v[2:3], v1, off
.LBB16_707:
	s_mov_b64 s[6:7], 0
.LBB16_708:
	s_andn2_b64 vcc, exec, s[6:7]
	s_cbranch_vccnz .LBB16_718
; %bb.709:
	v_and_b32_e32 v4, 0x7fffffff, v0
	s_mov_b32 s6, 0x47800000
	v_cmp_gt_u32_e32 vcc, s6, v4
                                        ; implicit-def: $vgpr1
	s_and_saveexec_b64 s[6:7], vcc
	s_xor_b64 s[6:7], exec, s[6:7]
	s_cbranch_execz .LBB16_715
; %bb.710:
	s_mov_b32 s8, 0x387fffff
	v_cmp_lt_u32_e32 vcc, s8, v4
                                        ; implicit-def: $vgpr1
	s_and_saveexec_b64 s[8:9], vcc
	s_xor_b64 s[8:9], exec, s[8:9]
; %bb.711:
	v_bfe_u32 v1, v0, 21, 1
	s_mov_b32 s10, 0x80fffff
	v_add3_u32 v1, v0, v1, s10
	v_lshrrev_b32_e32 v1, 21, v1
; %bb.712:
	s_andn2_saveexec_b64 s[8:9], s[8:9]
; %bb.713:
	s_mov_b32 s10, 0x43000000
	v_add_f32_e64 v1, |v0|, s10
; %bb.714:
	s_or_b64 exec, exec, s[8:9]
                                        ; implicit-def: $vgpr4
.LBB16_715:
	s_andn2_saveexec_b64 s[6:7], s[6:7]
; %bb.716:
	s_mov_b32 s8, 0x7f800000
	v_mov_b32_e32 v1, 0x7c
	v_mov_b32_e32 v5, 0x7f
	v_cmp_lt_u32_e32 vcc, s8, v4
	v_cndmask_b32_e32 v1, v1, v5, vcc
; %bb.717:
	s_or_b64 exec, exec, s[6:7]
	v_lshrrev_b32_e32 v4, 24, v0
	s_movk_i32 s6, 0x80
	v_and_or_b32 v1, v4, s6, v1
	global_store_byte v[2:3], v1, off
.LBB16_718:
	s_mov_b64 s[8:9], 0
	s_mov_b64 s[6:7], -1
.LBB16_719:
	s_andn2_b64 vcc, exec, s[8:9]
	s_cbranch_vccnz .LBB16_727
; %bb.720:
	v_mov_b32_e32 v1, 14
	v_cmp_gt_i16_sdwa s[10:11], v44, v1 src0_sel:BYTE_0 src1_sel:DWORD
	s_mov_b64 s[8:9], -1
	s_and_b64 vcc, exec, s[10:11]
	s_cbranch_vccz .LBB16_724
; %bb.721:
	v_mov_b32_e32 v1, 15
	v_cmp_eq_u16_sdwa s[8:9], v44, v1 src0_sel:BYTE_0 src1_sel:DWORD
	s_mov_b64 s[4:5], -1
	s_and_b64 vcc, exec, s[8:9]
	s_cbranch_vccz .LBB16_723
; %bb.722:
	v_bfe_u32 v1, v0, 16, 1
	s_movk_i32 s4, 0x7fff
	v_add3_u32 v1, v0, v1, s4
	v_lshrrev_b32_e32 v1, 16, v1
	v_mov_b32_e32 v4, 0x7fc0
	v_cmp_o_f32_e32 vcc, v0, v0
	v_cndmask_b32_e32 v1, v4, v1, vcc
	global_store_short v[2:3], v1, off
	s_mov_b64 s[6:7], -1
	s_mov_b64 s[4:5], 0
.LBB16_723:
	s_mov_b64 s[8:9], 0
.LBB16_724:
	s_and_b64 vcc, exec, s[8:9]
	s_cbranch_vccz .LBB16_727
; %bb.725:
	v_mov_b32_e32 v1, 11
	v_cmp_eq_u16_sdwa s[8:9], v44, v1 src0_sel:BYTE_0 src1_sel:DWORD
	s_mov_b64 s[4:5], -1
	s_and_b64 vcc, exec, s[8:9]
	s_cbranch_vccz .LBB16_727
; %bb.726:
	v_cmp_neq_f32_e32 vcc, 0, v0
	v_cndmask_b32_e64 v1, 0, 1, vcc
	s_mov_b64 s[6:7], -1
	s_mov_b64 s[4:5], 0
	global_store_byte v[2:3], v1, off
.LBB16_727:
	s_mov_b64 s[8:9], 0
.LBB16_728:
	s_and_b64 vcc, exec, s[8:9]
	s_cbranch_vccz .LBB16_767
; %bb.729:
	v_mov_b32_e32 v1, 5
	v_cmp_lt_i16_sdwa s[8:9], v44, v1 src0_sel:BYTE_0 src1_sel:DWORD
	s_mov_b64 s[6:7], -1
	s_and_b64 vcc, exec, s[8:9]
	s_cbranch_vccnz .LBB16_750
; %bb.730:
	v_mov_b32_e32 v1, 8
	v_cmp_lt_i16_sdwa s[8:9], v44, v1 src0_sel:BYTE_0 src1_sel:DWORD
	s_and_b64 vcc, exec, s[8:9]
	s_cbranch_vccnz .LBB16_740
; %bb.731:
	v_mov_b32_e32 v1, 9
	v_cmp_lt_i16_sdwa s[8:9], v44, v1 src0_sel:BYTE_0 src1_sel:DWORD
	s_and_b64 vcc, exec, s[8:9]
	s_cbranch_vccnz .LBB16_737
; %bb.732:
	v_cmp_gt_i16_sdwa s[8:9], v44, v1 src0_sel:BYTE_0 src1_sel:DWORD
	s_and_b64 vcc, exec, s[8:9]
	s_cbranch_vccz .LBB16_734
; %bb.733:
	v_mov_b32_e32 v6, 0
	v_cvt_f64_f32_e32 v[4:5], v0
	v_mov_b32_e32 v7, v6
	s_mov_b64 s[6:7], 0
	global_store_dwordx4 v[2:3], v[4:7], off
.LBB16_734:
	s_andn2_b64 vcc, exec, s[6:7]
	s_cbranch_vccnz .LBB16_736
; %bb.735:
	v_mov_b32_e32 v1, 0
	global_store_dwordx2 v[2:3], v[0:1], off
.LBB16_736:
	s_mov_b64 s[6:7], 0
.LBB16_737:
	s_andn2_b64 vcc, exec, s[6:7]
	s_cbranch_vccnz .LBB16_739
; %bb.738:
	v_cvt_f16_f32_e32 v1, v0
	global_store_dword v[2:3], v1, off
.LBB16_739:
	s_mov_b64 s[6:7], 0
.LBB16_740:
	s_andn2_b64 vcc, exec, s[6:7]
	s_cbranch_vccnz .LBB16_749
; %bb.741:
	v_mov_b32_e32 v1, 6
	v_cmp_lt_i16_sdwa s[8:9], v44, v1 src0_sel:BYTE_0 src1_sel:DWORD
	s_mov_b64 s[6:7], -1
	s_and_b64 vcc, exec, s[8:9]
	s_cbranch_vccnz .LBB16_747
; %bb.742:
	v_cmp_gt_i16_sdwa s[8:9], v44, v1 src0_sel:BYTE_0 src1_sel:DWORD
	s_and_b64 vcc, exec, s[8:9]
	s_cbranch_vccz .LBB16_744
; %bb.743:
	v_cvt_f64_f32_e32 v[4:5], v0
	s_mov_b64 s[6:7], 0
	global_store_dwordx2 v[2:3], v[4:5], off
.LBB16_744:
	s_andn2_b64 vcc, exec, s[6:7]
	s_cbranch_vccnz .LBB16_746
; %bb.745:
	global_store_dword v[2:3], v0, off
.LBB16_746:
	s_mov_b64 s[6:7], 0
.LBB16_747:
	s_andn2_b64 vcc, exec, s[6:7]
	s_cbranch_vccnz .LBB16_749
; %bb.748:
	v_cvt_f16_f32_e32 v1, v0
	global_store_short v[2:3], v1, off
.LBB16_749:
	s_mov_b64 s[6:7], 0
.LBB16_750:
	s_andn2_b64 vcc, exec, s[6:7]
	s_cbranch_vccnz .LBB16_766
; %bb.751:
	v_mov_b32_e32 v1, 2
	v_cmp_lt_i16_sdwa s[8:9], v44, v1 src0_sel:BYTE_0 src1_sel:DWORD
	s_mov_b64 s[6:7], -1
	s_and_b64 vcc, exec, s[8:9]
	s_cbranch_vccnz .LBB16_761
; %bb.752:
	v_mov_b32_e32 v1, 3
	v_cmp_lt_i16_sdwa s[8:9], v44, v1 src0_sel:BYTE_0 src1_sel:DWORD
	s_and_b64 vcc, exec, s[8:9]
	s_cbranch_vccnz .LBB16_758
; %bb.753:
	v_cmp_gt_i16_sdwa s[8:9], v44, v1 src0_sel:BYTE_0 src1_sel:DWORD
	s_and_b64 vcc, exec, s[8:9]
	s_cbranch_vccz .LBB16_755
; %bb.754:
	v_trunc_f32_e32 v1, v0
	s_mov_b32 s6, 0x2f800000
	v_mul_f32_e64 v4, |v1|, s6
	v_floor_f32_e32 v4, v4
	s_mov_b32 s6, 0xcf800000
	v_cvt_u32_f32_e32 v5, v4
	v_fma_f32 v4, v4, s6, |v1|
	v_cvt_u32_f32_e32 v4, v4
	v_ashrrev_i32_e32 v1, 31, v1
	v_xor_b32_e32 v5, v5, v1
	s_mov_b64 s[6:7], 0
	v_xor_b32_e32 v4, v4, v1
	v_sub_co_u32_e32 v4, vcc, v4, v1
	v_subb_co_u32_e32 v5, vcc, v5, v1, vcc
	global_store_dwordx2 v[2:3], v[4:5], off
.LBB16_755:
	s_andn2_b64 vcc, exec, s[6:7]
	s_cbranch_vccnz .LBB16_757
; %bb.756:
	v_cvt_i32_f32_e32 v1, v0
	global_store_dword v[2:3], v1, off
.LBB16_757:
	s_mov_b64 s[6:7], 0
.LBB16_758:
	s_andn2_b64 vcc, exec, s[6:7]
	s_cbranch_vccnz .LBB16_760
; %bb.759:
	v_cvt_i32_f32_e32 v1, v0
	global_store_short v[2:3], v1, off
.LBB16_760:
	s_mov_b64 s[6:7], 0
.LBB16_761:
	s_andn2_b64 vcc, exec, s[6:7]
	s_cbranch_vccnz .LBB16_766
; %bb.762:
	v_mov_b32_e32 v1, 0
	v_cmp_gt_i16_sdwa s[8:9], v44, v1 src0_sel:BYTE_0 src1_sel:DWORD
	s_mov_b64 s[6:7], -1
	s_and_b64 vcc, exec, s[8:9]
	s_cbranch_vccz .LBB16_764
; %bb.763:
	v_cvt_i32_f32_e32 v1, v0
	s_mov_b64 s[6:7], 0
	global_store_byte v[2:3], v1, off
.LBB16_764:
	s_andn2_b64 vcc, exec, s[6:7]
	s_cbranch_vccnz .LBB16_766
; %bb.765:
	v_trunc_f32_e32 v0, v0
	s_mov_b32 s6, 0x2f800000
	v_mul_f32_e64 v1, |v0|, s6
	v_floor_f32_e32 v1, v1
	s_mov_b32 s6, 0xcf800000
	v_fma_f32 v1, v1, s6, |v0|
	v_cvt_u32_f32_e32 v1, v1
	v_ashrrev_i32_e32 v0, 31, v0
	v_xor_b32_e32 v1, v1, v0
	v_sub_u32_e32 v0, v1, v0
	global_store_byte v[2:3], v0, off
.LBB16_766:
	s_mov_b64 s[6:7], -1
.LBB16_767:
	s_andn2_b64 vcc, exec, s[6:7]
	s_cbranch_vccnz .LBB16_769
; %bb.768:
	v_add_u32_e32 v45, 0x80, v45
	s_mov_b64 s[8:9], -1
	s_branch .LBB16_770
.LBB16_769:
	s_mov_b64 s[8:9], 0
                                        ; implicit-def: $vgpr45
.LBB16_770:
	s_andn2_b64 s[6:7], s[54:55], exec
	s_and_b64 s[4:5], s[4:5], exec
	s_or_b64 s[6:7], s[6:7], s[4:5]
	s_andn2_b64 s[4:5], s[52:53], exec
	s_and_b64 s[10:11], s[60:61], exec
	s_or_b64 s[4:5], s[4:5], s[10:11]
	s_orn2_b64 s[14:15], s[8:9], exec
.LBB16_771:
	s_or_b64 exec, exec, s[58:59]
	s_mov_b64 s[12:13], 0
	s_mov_b64 s[16:17], 0
	;; [unrolled: 1-line block ×3, first 2 shown]
                                        ; implicit-def: $vgpr2_vgpr3
                                        ; implicit-def: $vgpr1
	s_and_saveexec_b64 s[8:9], s[14:15]
	s_cbranch_execz .LBB16_856
; %bb.772:
	v_cmp_gt_i32_e32 vcc, s62, v45
	s_mov_b64 s[14:15], 0
	s_mov_b64 s[18:19], s[4:5]
	s_mov_b64 s[20:21], 0
                                        ; implicit-def: $vgpr2_vgpr3
                                        ; implicit-def: $vgpr1
	s_and_saveexec_b64 s[10:11], vcc
	s_cbranch_execz .LBB16_855
; %bb.773:
	s_waitcnt vmcnt(0)
	v_mul_lo_u32 v0, v45, s41
	v_ashrrev_i32_e32 v1, 31, v0
	v_mov_b32_e32 v3, s39
	v_add_co_u32_e32 v2, vcc, s38, v0
	v_addc_co_u32_e32 v3, vcc, v3, v1, vcc
	v_cmp_gt_i16_e32 vcc, 11, v46
	s_cbranch_vccnz .LBB16_780
; %bb.774:
	v_cmp_lt_i16_e32 vcc, 25, v46
	s_cbranch_vccz .LBB16_781
; %bb.775:
	v_cmp_lt_i16_e32 vcc, 28, v46
	s_cbranch_vccz .LBB16_782
	;; [unrolled: 3-line block ×4, first 2 shown]
; %bb.778:
	v_cmp_eq_u16_e32 vcc, 46, v46
	s_mov_b64 s[18:19], 0
	s_cbranch_vccz .LBB16_789
; %bb.779:
	global_load_dword v0, v[2:3], off
	s_mov_b64 s[16:17], -1
	s_waitcnt vmcnt(0)
	v_lshlrev_b32_e32 v1, 16, v0
	s_branch .LBB16_791
.LBB16_780:
	s_mov_b64 s[18:19], -1
                                        ; implicit-def: $vgpr1
	s_mov_b64 s[12:13], s[4:5]
	s_branch .LBB16_854
.LBB16_781:
	s_mov_b64 s[18:19], -1
	s_mov_b64 s[12:13], s[4:5]
                                        ; implicit-def: $vgpr1
	s_branch .LBB16_820
.LBB16_782:
	s_mov_b64 s[18:19], -1
	s_mov_b64 s[12:13], s[4:5]
                                        ; implicit-def: $vgpr1
	s_branch .LBB16_801
.LBB16_783:
	s_mov_b64 s[18:19], -1
	s_mov_b64 s[12:13], s[4:5]
                                        ; implicit-def: $vgpr1
	s_branch .LBB16_796
.LBB16_784:
	s_or_saveexec_b64 s[10:11], s[10:11]
                                        ; implicit-def: $sgpr12
	s_xor_b64 exec, exec, s[10:11]
	s_cbranch_execz .LBB16_680
.LBB16_785:
	s_mov_b32 s12, 0x46000000
	v_add_f32_e64 v1, |v0|, s12
	v_and_b32_e32 v1, 0xff, v1
	v_cmp_ne_u32_e32 vcc, 0, v1
	s_andn2_b64 s[8:9], s[8:9], exec
	s_and_b64 s[14:15], vcc, exec
	s_mov_b32 s12, 0
	s_or_b64 s[8:9], s[8:9], s[14:15]
	s_or_b64 exec, exec, s[10:11]
	v_mov_b32_e32 v4, s12
	s_and_saveexec_b64 s[10:11], s[8:9]
	s_cbranch_execnz .LBB16_681
	s_branch .LBB16_682
.LBB16_786:
	s_mov_b64 s[18:19], -1
	s_mov_b64 s[12:13], s[4:5]
	s_branch .LBB16_790
.LBB16_787:
	s_or_saveexec_b64 s[10:11], s[10:11]
                                        ; implicit-def: $sgpr12
	s_xor_b64 exec, exec, s[10:11]
	s_cbranch_execz .LBB16_693
.LBB16_788:
	s_mov_b32 s12, 0x42800000
	v_add_f32_e64 v1, |v0|, s12
	v_and_b32_e32 v1, 0xff, v1
	v_cmp_ne_u32_e32 vcc, 0, v1
	s_andn2_b64 s[8:9], s[8:9], exec
	s_and_b64 s[14:15], vcc, exec
	s_mov_b32 s12, 0
	s_or_b64 s[8:9], s[8:9], s[14:15]
	s_or_b64 exec, exec, s[10:11]
	v_mov_b32_e32 v4, s12
	s_and_saveexec_b64 s[10:11], s[8:9]
	s_cbranch_execnz .LBB16_694
	s_branch .LBB16_695
.LBB16_789:
	s_mov_b64 s[12:13], -1
.LBB16_790:
                                        ; implicit-def: $vgpr1
.LBB16_791:
	s_and_b64 vcc, exec, s[18:19]
	s_cbranch_vccz .LBB16_795
; %bb.792:
	v_cmp_eq_u16_e32 vcc, 44, v46
	s_cbranch_vccz .LBB16_794
; %bb.793:
	global_load_ubyte v0, v[2:3], off
	s_movk_i32 s16, 0xff
	v_mov_b32_e32 v1, 0x7f800001
	v_mov_b32_e32 v4, 0x400000
	s_mov_b64 s[12:13], 0
	s_waitcnt vmcnt(0)
	v_lshlrev_b32_e32 v5, 23, v0
	v_cmp_ne_u32_e32 vcc, s16, v0
	v_cndmask_b32_e32 v1, v1, v5, vcc
	v_cmp_ne_u32_e32 vcc, 0, v0
	v_cndmask_b32_e32 v1, v4, v1, vcc
	s_mov_b64 s[16:17], -1
	s_branch .LBB16_795
.LBB16_794:
	s_mov_b64 s[12:13], -1
                                        ; implicit-def: $vgpr1
.LBB16_795:
	s_mov_b64 s[18:19], 0
.LBB16_796:
	s_and_b64 vcc, exec, s[18:19]
	s_cbranch_vccz .LBB16_800
; %bb.797:
	v_cmp_eq_u16_e32 vcc, 29, v46
	s_cbranch_vccz .LBB16_799
; %bb.798:
	global_load_dwordx2 v[0:1], v[2:3], off
	s_mov_b64 s[12:13], 0
	s_mov_b64 s[16:17], -1
	s_mov_b64 s[18:19], 0
	s_waitcnt vmcnt(0)
	v_ffbh_u32_e32 v4, v1
	v_min_u32_e32 v4, 32, v4
	v_lshlrev_b64 v[0:1], v4, v[0:1]
	v_min_u32_e32 v0, 1, v0
	v_or_b32_e32 v0, v1, v0
	v_cvt_f32_u32_e32 v0, v0
	v_sub_u32_e32 v1, 32, v4
	v_ldexp_f32 v1, v0, v1
	s_branch .LBB16_801
.LBB16_799:
	s_mov_b64 s[12:13], -1
                                        ; implicit-def: $vgpr1
.LBB16_800:
	s_mov_b64 s[18:19], 0
.LBB16_801:
	s_and_b64 vcc, exec, s[18:19]
	s_cbranch_vccz .LBB16_819
; %bb.802:
	v_cmp_gt_i16_e32 vcc, 27, v46
	s_cbranch_vccnz .LBB16_805
; %bb.803:
	v_cmp_lt_i16_e32 vcc, 27, v46
	s_cbranch_vccz .LBB16_806
; %bb.804:
	global_load_dword v0, v[2:3], off
	s_mov_b64 s[16:17], 0
	s_waitcnt vmcnt(0)
	v_cvt_f32_u32_e32 v1, v0
	s_branch .LBB16_807
.LBB16_805:
	s_mov_b64 s[16:17], -1
                                        ; implicit-def: $vgpr1
	s_branch .LBB16_810
.LBB16_806:
	s_mov_b64 s[16:17], -1
                                        ; implicit-def: $vgpr1
.LBB16_807:
	s_andn2_b64 vcc, exec, s[16:17]
	s_cbranch_vccnz .LBB16_809
; %bb.808:
	global_load_ushort v0, v[2:3], off
	s_waitcnt vmcnt(0)
	v_cvt_f32_u32_e32 v1, v0
.LBB16_809:
	s_mov_b64 s[16:17], 0
.LBB16_810:
	s_andn2_b64 vcc, exec, s[16:17]
	s_cbranch_vccnz .LBB16_818
; %bb.811:
	global_load_ubyte v0, v[2:3], off
	s_movk_i32 s16, 0x7f
                                        ; implicit-def: $sgpr22
	s_waitcnt vmcnt(0)
	v_cmp_lt_i16_e32 vcc, s16, v0
	s_mov_b64 s[16:17], 0
	s_and_saveexec_b64 s[18:19], vcc
	s_xor_b64 s[18:19], exec, s[18:19]
	s_cbranch_execz .LBB16_832
; %bb.812:
	s_movk_i32 s16, 0x80
	v_cmp_eq_u16_e32 vcc, s16, v0
	s_mov_b64 s[16:17], -1
                                        ; implicit-def: $sgpr22
	s_and_saveexec_b64 s[20:21], vcc
; %bb.813:
	s_mov_b32 s22, 0x7f800001
	s_xor_b64 s[16:17], exec, -1
; %bb.814:
	s_or_b64 exec, exec, s[20:21]
	s_and_b64 s[16:17], s[16:17], exec
	s_or_saveexec_b64 s[18:19], s[18:19]
	v_mov_b32_e32 v1, s22
	s_xor_b64 exec, exec, s[18:19]
	s_cbranch_execnz .LBB16_833
.LBB16_815:
	s_or_b64 exec, exec, s[18:19]
	s_and_saveexec_b64 s[18:19], s[16:17]
	s_cbranch_execz .LBB16_817
.LBB16_816:
	v_lshlrev_b32_e32 v1, 24, v0
	v_and_b32_e32 v0, 0xffff, v0
	v_and_b32_e32 v4, 7, v0
	v_ffbh_u32_e32 v6, v4
	v_min_u32_e32 v6, 32, v6
	v_subrev_u32_e32 v7, 28, v6
	v_bfe_u32 v5, v0, 3, 4
	v_lshlrev_b32_e32 v0, v7, v0
	v_sub_u32_e32 v6, 29, v6
	v_and_b32_e32 v0, 7, v0
	v_cmp_eq_u32_e32 vcc, 0, v5
	v_cndmask_b32_e32 v5, v5, v6, vcc
	v_cndmask_b32_e32 v0, v4, v0, vcc
	v_mov_b32_e32 v4, 0x3b800000
	v_lshlrev_b32_e32 v0, 20, v0
	v_and_b32_e32 v1, 0x80000000, v1
	v_lshl_add_u32 v4, v5, 23, v4
	v_or3_b32 v1, v1, v4, v0
.LBB16_817:
	s_or_b64 exec, exec, s[18:19]
.LBB16_818:
	s_mov_b64 s[16:17], -1
.LBB16_819:
	s_mov_b64 s[18:19], 0
.LBB16_820:
	s_and_b64 vcc, exec, s[18:19]
	s_cbranch_vccz .LBB16_853
; %bb.821:
	v_cmp_lt_i16_e32 vcc, 22, v46
	s_cbranch_vccz .LBB16_831
; %bb.822:
	v_cmp_gt_i16_e32 vcc, 24, v46
	s_cbranch_vccnz .LBB16_834
; %bb.823:
	v_cmp_lt_i16_e32 vcc, 24, v46
	s_cbranch_vccz .LBB16_835
; %bb.824:
	global_load_ubyte v0, v[2:3], off
	s_movk_i32 s14, 0x7f
                                        ; implicit-def: $sgpr20
	s_waitcnt vmcnt(0)
	v_cmp_lt_i16_e32 vcc, s14, v0
	s_mov_b64 s[14:15], 0
	s_and_saveexec_b64 s[16:17], vcc
	s_xor_b64 s[16:17], exec, s[16:17]
	s_cbranch_execz .LBB16_847
; %bb.825:
	s_movk_i32 s14, 0x80
	v_cmp_eq_u16_e32 vcc, s14, v0
	s_mov_b64 s[14:15], -1
                                        ; implicit-def: $sgpr20
	s_and_saveexec_b64 s[18:19], vcc
; %bb.826:
	s_mov_b32 s20, 0x7f800001
	s_xor_b64 s[14:15], exec, -1
; %bb.827:
	s_or_b64 exec, exec, s[18:19]
	s_and_b64 s[14:15], s[14:15], exec
	s_or_saveexec_b64 s[16:17], s[16:17]
	v_mov_b32_e32 v1, s20
	s_xor_b64 exec, exec, s[16:17]
	s_cbranch_execnz .LBB16_848
.LBB16_828:
	s_or_b64 exec, exec, s[16:17]
	s_and_saveexec_b64 s[16:17], s[14:15]
	s_cbranch_execz .LBB16_830
.LBB16_829:
	v_lshlrev_b32_e32 v1, 24, v0
	v_and_b32_e32 v0, 0xffff, v0
	v_and_b32_e32 v4, 3, v0
	v_ffbh_u32_e32 v6, v4
	v_min_u32_e32 v6, 32, v6
	v_subrev_u32_e32 v7, 29, v6
	v_bfe_u32 v5, v0, 2, 5
	v_lshlrev_b32_e32 v0, v7, v0
	v_sub_u32_e32 v6, 30, v6
	v_and_b32_e32 v0, 3, v0
	v_cmp_eq_u32_e32 vcc, 0, v5
	v_cndmask_b32_e32 v5, v5, v6, vcc
	v_cndmask_b32_e32 v0, v4, v0, vcc
	v_mov_b32_e32 v4, 0x37800000
	v_lshlrev_b32_e32 v0, 21, v0
	v_and_b32_e32 v1, 0x80000000, v1
	v_lshl_add_u32 v4, v5, 23, v4
	v_or3_b32 v1, v1, v4, v0
.LBB16_830:
	s_or_b64 exec, exec, s[16:17]
	s_mov_b64 s[14:15], 0
	s_branch .LBB16_836
.LBB16_831:
	s_mov_b64 s[14:15], -1
                                        ; implicit-def: $vgpr1
	s_branch .LBB16_842
.LBB16_832:
	s_or_saveexec_b64 s[18:19], s[18:19]
	v_mov_b32_e32 v1, s22
	s_xor_b64 exec, exec, s[18:19]
	s_cbranch_execz .LBB16_815
.LBB16_833:
	v_cmp_ne_u16_e32 vcc, 0, v0
	s_andn2_b64 s[16:17], s[16:17], exec
	s_and_b64 s[20:21], vcc, exec
	v_mov_b32_e32 v1, 0
	s_or_b64 s[16:17], s[16:17], s[20:21]
	s_or_b64 exec, exec, s[18:19]
	s_and_saveexec_b64 s[18:19], s[16:17]
	s_cbranch_execnz .LBB16_816
	s_branch .LBB16_817
.LBB16_834:
	s_mov_b64 s[14:15], -1
                                        ; implicit-def: $vgpr1
	s_branch .LBB16_839
.LBB16_835:
	s_mov_b64 s[14:15], -1
                                        ; implicit-def: $vgpr1
.LBB16_836:
	s_and_b64 vcc, exec, s[14:15]
	s_cbranch_vccz .LBB16_838
; %bb.837:
	global_load_ubyte v0, v[2:3], off
	s_mov_b32 s14, 0x7f800000
	s_waitcnt vmcnt(0)
	v_lshlrev_b32_e32 v0, 24, v0
	v_and_b32_e32 v1, 0x7f000000, v0
	v_ffbh_u32_e32 v4, v1
	v_min_u32_e32 v4, 32, v4
	v_sub_u32_e64 v4, v4, 4 clamp
	v_lshlrev_b32_e32 v6, v4, v1
	v_lshlrev_b32_e32 v4, 23, v4
	v_lshrrev_b32_e32 v6, 4, v6
	v_add_u32_e32 v5, 0x1000000, v1
	v_sub_u32_e32 v4, v6, v4
	v_ashrrev_i32_e32 v5, 8, v5
	v_add_u32_e32 v4, 0x3c000000, v4
	v_and_or_b32 v4, v5, s14, v4
	v_cmp_ne_u32_e32 vcc, 0, v1
	v_cndmask_b32_e32 v1, 0, v4, vcc
	s_brev_b32 s14, 1
	v_and_or_b32 v1, v0, s14, v1
.LBB16_838:
	s_mov_b64 s[14:15], 0
.LBB16_839:
	s_andn2_b64 vcc, exec, s[14:15]
	s_cbranch_vccnz .LBB16_841
; %bb.840:
	global_load_ubyte v0, v[2:3], off
	s_movk_i32 s14, 0x7f00
	s_brev_b32 s15, 16
	s_waitcnt vmcnt(0)
	v_lshlrev_b16_e32 v1, 8, v0
	v_lshlrev_b32_e32 v0, 25, v0
	v_lshrrev_b32_e32 v4, 4, v0
	v_and_or_b32 v5, v1, s14, 0.5
	v_or_b32_e32 v4, 0x70000000, v4
	v_add_f32_e32 v5, -0.5, v5
	v_mul_f32_e32 v4, 0x7800000, v4
	v_cmp_gt_u32_e32 vcc, s15, v0
	v_bfe_i32 v1, v1, 0, 16
	v_cndmask_b32_e32 v0, v4, v5, vcc
	s_brev_b32 s14, 1
	v_and_or_b32 v1, v1, s14, v0
.LBB16_841:
	s_mov_b64 s[14:15], 0
	s_mov_b64 s[16:17], -1
.LBB16_842:
	s_andn2_b64 vcc, exec, s[14:15]
	s_mov_b64 s[14:15], 0
	s_cbranch_vccnz .LBB16_853
; %bb.843:
	v_cmp_lt_i16_e32 vcc, 14, v46
	s_cbranch_vccz .LBB16_846
; %bb.844:
	v_cmp_eq_u16_e32 vcc, 15, v46
	s_cbranch_vccz .LBB16_849
; %bb.845:
	global_load_ushort v0, v[2:3], off
	s_mov_b64 s[12:13], 0
	s_mov_b64 s[16:17], -1
	s_waitcnt vmcnt(0)
	v_lshlrev_b32_e32 v1, 16, v0
	s_branch .LBB16_850
.LBB16_846:
	s_mov_b64 s[18:19], -1
                                        ; implicit-def: $vgpr1
	s_branch .LBB16_851
.LBB16_847:
	s_or_saveexec_b64 s[16:17], s[16:17]
	v_mov_b32_e32 v1, s20
	s_xor_b64 exec, exec, s[16:17]
	s_cbranch_execz .LBB16_828
.LBB16_848:
	v_cmp_ne_u16_e32 vcc, 0, v0
	s_andn2_b64 s[14:15], s[14:15], exec
	s_and_b64 s[18:19], vcc, exec
	v_mov_b32_e32 v1, 0
	s_or_b64 s[14:15], s[14:15], s[18:19]
	s_or_b64 exec, exec, s[16:17]
	s_and_saveexec_b64 s[16:17], s[14:15]
	s_cbranch_execnz .LBB16_829
	s_branch .LBB16_830
.LBB16_849:
	s_mov_b64 s[12:13], -1
                                        ; implicit-def: $vgpr1
.LBB16_850:
	s_mov_b64 s[18:19], 0
.LBB16_851:
	s_and_b64 vcc, exec, s[18:19]
	s_cbranch_vccz .LBB16_853
; %bb.852:
	v_cmp_ne_u16_e32 vcc, 11, v46
	s_andn2_b64 s[12:13], s[12:13], exec
	s_and_b64 s[18:19], vcc, exec
	s_mov_b64 s[14:15], -1
	s_or_b64 s[12:13], s[12:13], s[18:19]
                                        ; implicit-def: $vgpr1
.LBB16_853:
	s_mov_b64 s[18:19], 0
.LBB16_854:
	s_and_b64 s[20:21], s[16:17], exec
	s_and_b64 s[16:17], s[18:19], exec
	s_andn2_b64 s[18:19], s[4:5], exec
	s_and_b64 s[12:13], s[12:13], exec
	s_and_b64 s[14:15], s[14:15], exec
	s_or_b64 s[18:19], s[18:19], s[12:13]
.LBB16_855:
	s_or_b64 exec, exec, s[10:11]
	s_and_b64 s[12:13], s[14:15], exec
	s_andn2_b64 s[4:5], s[4:5], exec
	s_and_b64 s[14:15], s[18:19], exec
	s_and_b64 s[10:11], s[20:21], exec
	s_and_b64 s[16:17], s[16:17], exec
	s_or_b64 s[4:5], s[4:5], s[14:15]
.LBB16_856:
	s_or_b64 exec, exec, s[8:9]
	s_andn2_b64 s[8:9], s[54:55], exec
	s_and_b64 s[6:7], s[6:7], exec
	s_or_b64 s[54:55], s[8:9], s[6:7]
	s_and_b64 s[6:7], s[12:13], exec
	s_andn2_b64 s[12:13], s[52:53], exec
	s_and_b64 s[4:5], s[4:5], exec
	s_and_b64 s[10:11], s[10:11], exec
	;; [unrolled: 1-line block ×3, first 2 shown]
	s_or_b64 s[52:53], s[12:13], s[4:5]
.LBB16_857:
	s_or_b64 exec, exec, s[56:57]
	s_andn2_b64 s[4:5], s[46:47], exec
	s_and_b64 s[12:13], s[54:55], exec
	s_or_b64 s[46:47], s[4:5], s[12:13]
	s_and_b64 s[4:5], s[10:11], exec
	s_and_b64 s[54:55], s[6:7], exec
	s_andn2_b64 s[6:7], s[48:49], exec
	s_and_b64 s[10:11], s[52:53], exec
	s_and_b64 s[8:9], s[8:9], exec
	s_or_b64 s[48:49], s[6:7], s[10:11]
	s_or_b64 exec, exec, s[50:51]
	s_mov_b64 s[50:51], 0
	s_and_saveexec_b64 s[6:7], s[48:49]
	s_cbranch_execz .LBB16_261
.LBB16_858:
	s_mov_b64 s[50:51], exec
	s_andn2_b64 s[54:55], s[54:55], exec
	s_trap 2
                                        ; implicit-def: $vgpr1
	s_or_b64 exec, exec, s[6:7]
	s_and_saveexec_b64 s[6:7], s[54:55]
	s_xor_b64 s[6:7], exec, s[6:7]
	s_cbranch_execnz .LBB16_262
.LBB16_859:
	s_or_b64 exec, exec, s[6:7]
	s_and_saveexec_b64 s[6:7], s[8:9]
	s_cbranch_execz .LBB16_905
.LBB16_860:
	v_cmp_gt_i16_e32 vcc, 5, v46
	s_cbranch_vccnz .LBB16_865
; %bb.861:
	v_cmp_gt_i16_e32 vcc, 8, v46
	s_cbranch_vccnz .LBB16_866
; %bb.862:
	;; [unrolled: 3-line block ×3, first 2 shown]
	v_cmp_lt_i16_e32 vcc, 9, v46
	s_cbranch_vccz .LBB16_868
; %bb.864:
	global_load_dwordx2 v[0:1], v[2:3], off
	s_mov_b64 s[8:9], 0
	s_waitcnt vmcnt(0)
	v_cvt_f32_f64_e32 v1, v[0:1]
	s_branch .LBB16_869
.LBB16_865:
                                        ; implicit-def: $vgpr1
	s_branch .LBB16_886
.LBB16_866:
                                        ; implicit-def: $vgpr1
	s_branch .LBB16_875
.LBB16_867:
	s_mov_b64 s[8:9], -1
                                        ; implicit-def: $vgpr1
	s_branch .LBB16_872
.LBB16_868:
	s_mov_b64 s[8:9], -1
                                        ; implicit-def: $vgpr1
.LBB16_869:
	s_andn2_b64 vcc, exec, s[8:9]
	s_cbranch_vccnz .LBB16_871
; %bb.870:
	global_load_dword v1, v[2:3], off
.LBB16_871:
	s_mov_b64 s[8:9], 0
.LBB16_872:
	s_andn2_b64 vcc, exec, s[8:9]
	s_cbranch_vccnz .LBB16_874
; %bb.873:
	global_load_dword v0, v[2:3], off
	s_waitcnt vmcnt(0)
	v_cvt_f32_f16_e32 v1, v0
.LBB16_874:
	s_cbranch_execnz .LBB16_885
.LBB16_875:
	v_cmp_gt_i16_e32 vcc, 6, v46
	s_cbranch_vccnz .LBB16_878
; %bb.876:
	v_cmp_lt_i16_e32 vcc, 6, v46
	s_cbranch_vccz .LBB16_879
; %bb.877:
	global_load_dwordx2 v[0:1], v[2:3], off
	s_mov_b64 s[8:9], 0
	s_waitcnt vmcnt(0)
	v_cvt_f32_f64_e32 v1, v[0:1]
	s_branch .LBB16_880
.LBB16_878:
	s_mov_b64 s[8:9], -1
                                        ; implicit-def: $vgpr1
	s_branch .LBB16_883
.LBB16_879:
	s_mov_b64 s[8:9], -1
                                        ; implicit-def: $vgpr1
.LBB16_880:
	s_andn2_b64 vcc, exec, s[8:9]
	s_cbranch_vccnz .LBB16_882
; %bb.881:
	global_load_dword v1, v[2:3], off
.LBB16_882:
	s_mov_b64 s[8:9], 0
.LBB16_883:
	s_andn2_b64 vcc, exec, s[8:9]
	s_cbranch_vccnz .LBB16_885
; %bb.884:
	global_load_ushort v0, v[2:3], off
	s_waitcnt vmcnt(0)
	v_cvt_f32_f16_e32 v1, v0
.LBB16_885:
	s_cbranch_execnz .LBB16_904
.LBB16_886:
	v_cmp_gt_i16_e32 vcc, 2, v46
	s_cbranch_vccnz .LBB16_890
; %bb.887:
	v_cmp_gt_i16_e32 vcc, 3, v46
	s_cbranch_vccnz .LBB16_891
; %bb.888:
	v_cmp_lt_i16_e32 vcc, 3, v46
	s_cbranch_vccz .LBB16_892
; %bb.889:
	global_load_dwordx2 v[0:1], v[2:3], off
	s_mov_b64 s[8:9], 0
	s_waitcnt vmcnt(0)
	v_xor_b32_e32 v5, v0, v1
	v_ffbh_i32_e32 v4, v1
	v_ashrrev_i32_e32 v5, 31, v5
	v_add_u32_e32 v4, -1, v4
	v_add_u32_e32 v5, 32, v5
	v_min_u32_e32 v4, v4, v5
	v_lshlrev_b64 v[0:1], v4, v[0:1]
	v_min_u32_e32 v0, 1, v0
	v_or_b32_e32 v0, v1, v0
	v_cvt_f32_i32_e32 v0, v0
	v_sub_u32_e32 v1, 32, v4
	v_ldexp_f32 v1, v0, v1
	s_branch .LBB16_893
.LBB16_890:
                                        ; implicit-def: $vgpr1
	s_branch .LBB16_899
.LBB16_891:
	s_mov_b64 s[8:9], -1
                                        ; implicit-def: $vgpr1
	s_branch .LBB16_896
.LBB16_892:
	s_mov_b64 s[8:9], -1
                                        ; implicit-def: $vgpr1
.LBB16_893:
	s_andn2_b64 vcc, exec, s[8:9]
	s_cbranch_vccnz .LBB16_895
; %bb.894:
	global_load_dword v0, v[2:3], off
	s_waitcnt vmcnt(0)
	v_cvt_f32_i32_e32 v1, v0
.LBB16_895:
	s_mov_b64 s[8:9], 0
.LBB16_896:
	s_andn2_b64 vcc, exec, s[8:9]
	s_cbranch_vccnz .LBB16_898
; %bb.897:
	global_load_sshort v0, v[2:3], off
	s_waitcnt vmcnt(0)
	v_cvt_f32_i32_e32 v1, v0
.LBB16_898:
	s_cbranch_execnz .LBB16_904
.LBB16_899:
	v_cmp_lt_i16_e32 vcc, 0, v46
	s_cbranch_vccz .LBB16_901
; %bb.900:
	global_load_sbyte v0, v[2:3], off
	s_mov_b64 s[8:9], 0
	s_waitcnt vmcnt(0)
	v_cvt_f32_i32_e32 v1, v0
	s_branch .LBB16_902
.LBB16_901:
	s_mov_b64 s[8:9], -1
                                        ; implicit-def: $vgpr1
.LBB16_902:
	s_andn2_b64 vcc, exec, s[8:9]
	s_cbranch_vccnz .LBB16_904
; %bb.903:
	global_load_ubyte v0, v[2:3], off
	s_waitcnt vmcnt(0)
	v_cvt_f32_ubyte0_e32 v1, v0
.LBB16_904:
	s_or_b64 s[4:5], s[4:5], exec
.LBB16_905:
	s_or_b64 exec, exec, s[6:7]
	s_mov_b64 s[8:9], 0
	s_mov_b64 s[6:7], 0
                                        ; implicit-def: $vgpr4
                                        ; implicit-def: $vgpr2_vgpr3
                                        ; implicit-def: $vgpr0
	s_and_saveexec_b64 s[48:49], s[4:5]
	s_cbranch_execz .LBB16_923
; %bb.906:
	s_waitcnt vmcnt(0)
	v_mov_b32_e32 v0, v1
	s_getpc_b64 s[4:5]
	s_add_u32 s4, s4, _Z17bessel_j1_forwardIfET_S0_@rel32@lo+4
	s_addc_u32 s5, s5, _Z17bessel_j1_forwardIfET_S0_@rel32@hi+12
	s_swappc_b64 s[30:31], s[4:5]
	v_mul_lo_u32 v1, v45, s40
	v_ashrrev_i32_e32 v3, 31, v1
	v_mov_b32_e32 v4, s37
	v_add_co_u32_e32 v2, vcc, s36, v1
	v_addc_co_u32_e32 v3, vcc, v4, v3, vcc
	v_and_b32_e32 v4, 0xff, v44
	v_cmp_gt_i16_e32 vcc, 11, v4
	s_cbranch_vccnz .LBB16_926
; %bb.907:
	v_cmp_lt_i16_e32 vcc, 25, v4
	s_mov_b64 s[8:9], -1
	s_mov_b64 s[4:5], s[46:47]
	s_cbranch_vccz .LBB16_944
; %bb.908:
	v_cmp_lt_i16_e32 vcc, 28, v4
	s_mov_b64 s[6:7], -1
	s_mov_b64 s[4:5], s[46:47]
	s_cbranch_vccz .LBB16_928
; %bb.909:
	v_cmp_lt_i16_e32 vcc, 43, v4
	s_mov_b64 s[4:5], s[46:47]
	s_cbranch_vccz .LBB16_920
; %bb.910:
	v_cmp_lt_i16_e32 vcc, 45, v4
	s_mov_b64 s[4:5], s[46:47]
	s_cbranch_vccz .LBB16_914
; %bb.911:
	v_cmp_eq_u16_e32 vcc, 46, v4
	s_mov_b64 s[4:5], -1
	s_cbranch_vccz .LBB16_913
; %bb.912:
	v_bfe_u32 v1, v0, 16, 1
	s_movk_i32 s4, 0x7fff
	v_add3_u32 v1, v0, v1, s4
	v_lshrrev_b32_e32 v1, 16, v1
	v_mov_b32_e32 v5, 0x7fc0
	v_cmp_o_f32_e32 vcc, v0, v0
	v_cndmask_b32_e32 v1, v5, v1, vcc
	global_store_dword v[2:3], v1, off
	s_mov_b64 s[4:5], 0
.LBB16_913:
	s_mov_b64 s[6:7], 0
.LBB16_914:
	s_and_b64 vcc, exec, s[6:7]
	s_cbranch_vccz .LBB16_919
; %bb.915:
	v_cmp_eq_u16_e32 vcc, 44, v4
	s_mov_b64 s[4:5], -1
	s_cbranch_vccz .LBB16_919
; %bb.916:
	v_bfe_u32 v1, v0, 23, 8
	s_movk_i32 s4, 0xff
	v_cmp_ne_u32_e32 vcc, s4, v1
	v_mov_b32_e32 v5, 0xff
	s_and_saveexec_b64 s[6:7], vcc
; %bb.917:
	s_mov_b32 s4, 0x3fffff
	v_and_b32_e32 v6, 0x400000, v0
	v_and_or_b32 v1, v0, s4, v1
	v_cmp_ne_u32_e32 vcc, 0, v6
	v_cmp_ne_u32_e64 s[4:5], 0, v1
	s_and_b64 s[4:5], vcc, s[4:5]
	v_lshrrev_b32_e32 v5, 23, v0
	v_cndmask_b32_e64 v1, 0, 1, s[4:5]
	v_add_u32_e32 v5, v5, v1
; %bb.918:
	s_or_b64 exec, exec, s[6:7]
	s_mov_b64 s[4:5], 0
	global_store_byte v[2:3], v5, off
.LBB16_919:
	s_mov_b64 s[6:7], 0
.LBB16_920:
	s_and_b64 vcc, exec, s[6:7]
	s_cbranch_vccz .LBB16_927
; %bb.921:
	v_cmp_eq_u16_e32 vcc, 29, v4
	s_mov_b64 s[4:5], -1
	s_cbranch_vccz .LBB16_927
; %bb.922:
	v_trunc_f32_e32 v1, v0
	v_mul_f32_e32 v5, 0x2f800000, v1
	v_floor_f32_e32 v5, v5
	v_fmac_f32_e32 v1, 0xcf800000, v5
	v_cvt_u32_f32_e32 v7, v5
	v_cvt_u32_f32_e32 v6, v1
	s_mov_b64 s[4:5], 0
	s_mov_b64 s[6:7], 0
	global_store_dwordx2 v[2:3], v[6:7], off
	s_branch .LBB16_928
.LBB16_923:
	s_or_b64 exec, exec, s[48:49]
	s_and_saveexec_b64 s[4:5], s[46:47]
	s_cbranch_execnz .LBB16_986
.LBB16_924:
	s_or_b64 exec, exec, s[4:5]
	s_and_saveexec_b64 s[4:5], s[8:9]
	s_xor_b64 s[4:5], exec, s[4:5]
	s_cbranch_execz .LBB16_987
.LBB16_925:
	s_waitcnt vmcnt(0)
	v_cmp_neq_f32_e32 vcc, 0, v0
	v_cndmask_b32_e64 v1, 0, 1, vcc
	global_store_byte v[2:3], v1, off
	s_or_b64 exec, exec, s[4:5]
	s_and_saveexec_b64 s[4:5], s[6:7]
	s_xor_b64 s[4:5], exec, s[4:5]
	s_cbranch_execz .LBB16_1025
	s_branch .LBB16_988
.LBB16_926:
	s_mov_b64 s[8:9], 0
	s_mov_b64 s[6:7], -1
	s_mov_b64 s[4:5], s[46:47]
	s_branch .LBB16_985
.LBB16_927:
	s_mov_b64 s[6:7], 0
.LBB16_928:
	s_and_b64 vcc, exec, s[6:7]
	s_cbranch_vccz .LBB16_943
; %bb.929:
	v_cmp_gt_i16_e32 vcc, 27, v4
	s_mov_b64 s[6:7], -1
	s_cbranch_vccnz .LBB16_935
; %bb.930:
	v_cvt_u32_f32_e32 v1, v0
	v_cmp_lt_i16_e32 vcc, 27, v4
	s_cbranch_vccz .LBB16_932
; %bb.931:
	s_mov_b64 s[6:7], 0
	global_store_dword v[2:3], v1, off
.LBB16_932:
	s_andn2_b64 vcc, exec, s[6:7]
	s_cbranch_vccnz .LBB16_934
; %bb.933:
	global_store_short v[2:3], v1, off
.LBB16_934:
	s_mov_b64 s[6:7], 0
.LBB16_935:
	s_andn2_b64 vcc, exec, s[6:7]
	s_cbranch_vccnz .LBB16_943
; %bb.936:
	v_and_b32_e32 v1, 0x7fffffff, v0
	s_mov_b32 s6, 0x43800000
	v_cmp_gt_u32_e32 vcc, s6, v1
	v_mov_b32_e32 v5, 0x80
	s_and_saveexec_b64 s[6:7], vcc
	s_cbranch_execz .LBB16_942
; %bb.937:
	s_mov_b32 s8, 0x3bffffff
	v_cmp_lt_u32_e32 vcc, s8, v1
	s_mov_b64 s[8:9], 0
                                        ; implicit-def: $vgpr1
	s_and_saveexec_b64 s[10:11], vcc
	s_xor_b64 s[10:11], exec, s[10:11]
	s_cbranch_execz .LBB16_1040
; %bb.938:
	v_bfe_u32 v1, v0, 20, 1
	s_mov_b32 s12, 0x487ffff
	v_add3_u32 v1, v0, v1, s12
	s_mov_b64 s[8:9], exec
	v_lshrrev_b32_e32 v1, 20, v1
	s_or_saveexec_b64 s[10:11], s[10:11]
                                        ; implicit-def: $sgpr12
	s_xor_b64 exec, exec, s[10:11]
	s_cbranch_execnz .LBB16_1041
.LBB16_939:
	s_or_b64 exec, exec, s[10:11]
	v_mov_b32_e32 v5, s12
	s_and_saveexec_b64 s[10:11], s[8:9]
.LBB16_940:
	v_lshrrev_b32_e32 v5, 24, v0
	s_movk_i32 s8, 0x80
	v_and_or_b32 v5, v5, s8, v1
.LBB16_941:
	s_or_b64 exec, exec, s[10:11]
.LBB16_942:
	s_or_b64 exec, exec, s[6:7]
	global_store_byte v[2:3], v5, off
.LBB16_943:
	s_mov_b64 s[8:9], 0
.LBB16_944:
	s_mov_b64 s[6:7], 0
	s_and_b64 vcc, exec, s[8:9]
	s_cbranch_vccz .LBB16_984
; %bb.945:
	v_cmp_lt_i16_e32 vcc, 22, v4
	s_mov_b64 s[8:9], -1
	s_cbranch_vccz .LBB16_977
; %bb.946:
	v_cmp_gt_i16_e32 vcc, 24, v4
	s_cbranch_vccnz .LBB16_966
; %bb.947:
	v_cmp_lt_i16_e32 vcc, 24, v4
	s_cbranch_vccz .LBB16_955
; %bb.948:
	v_and_b32_e32 v1, 0x7fffffff, v0
	s_mov_b32 s8, 0x47800000
	v_cmp_gt_u32_e32 vcc, s8, v1
	v_mov_b32_e32 v5, 0x80
	s_and_saveexec_b64 s[8:9], vcc
	s_cbranch_execz .LBB16_954
; %bb.949:
	s_mov_b32 s10, 0x37ffffff
	v_cmp_lt_u32_e32 vcc, s10, v1
	s_mov_b64 s[10:11], 0
                                        ; implicit-def: $vgpr1
	s_and_saveexec_b64 s[12:13], vcc
	s_xor_b64 s[12:13], exec, s[12:13]
	s_cbranch_execz .LBB16_1165
; %bb.950:
	v_bfe_u32 v1, v0, 21, 1
	s_mov_b32 s14, 0x88fffff
	v_add3_u32 v1, v0, v1, s14
	s_mov_b64 s[10:11], exec
	v_lshrrev_b32_e32 v1, 21, v1
	s_or_saveexec_b64 s[12:13], s[12:13]
                                        ; implicit-def: $sgpr14
	s_xor_b64 exec, exec, s[12:13]
	s_cbranch_execnz .LBB16_1166
.LBB16_951:
	s_or_b64 exec, exec, s[12:13]
	v_mov_b32_e32 v5, s14
	s_and_saveexec_b64 s[12:13], s[10:11]
.LBB16_952:
	v_lshrrev_b32_e32 v5, 24, v0
	s_movk_i32 s10, 0x80
	v_and_or_b32 v5, v5, s10, v1
.LBB16_953:
	s_or_b64 exec, exec, s[12:13]
.LBB16_954:
	s_or_b64 exec, exec, s[8:9]
	s_mov_b64 s[8:9], 0
	global_store_byte v[2:3], v5, off
.LBB16_955:
	s_and_b64 vcc, exec, s[8:9]
	s_cbranch_vccz .LBB16_965
; %bb.956:
	v_and_b32_e32 v5, 0x7fffffff, v0
	s_mov_b32 s8, 0x43f00000
	v_cmp_gt_u32_e32 vcc, s8, v5
                                        ; implicit-def: $vgpr1
	s_and_saveexec_b64 s[8:9], vcc
	s_xor_b64 s[8:9], exec, s[8:9]
	s_cbranch_execz .LBB16_962
; %bb.957:
	s_mov_b32 s10, 0x3c7fffff
	v_cmp_lt_u32_e32 vcc, s10, v5
                                        ; implicit-def: $vgpr1
	s_and_saveexec_b64 s[10:11], vcc
	s_xor_b64 s[10:11], exec, s[10:11]
; %bb.958:
	v_bfe_u32 v1, v0, 20, 1
	s_mov_b32 s12, 0x407ffff
	v_add3_u32 v1, v0, v1, s12
	v_lshrrev_b32_e32 v5, 20, v1
	v_and_b32_e32 v1, 0xff00000, v1
	s_mov_b32 s12, 0x7f00000
	v_mov_b32_e32 v6, 0x7e
	v_cmp_ne_u32_e32 vcc, s12, v1
	v_cndmask_b32_e32 v1, v6, v5, vcc
; %bb.959:
	s_andn2_saveexec_b64 s[10:11], s[10:11]
; %bb.960:
	s_mov_b32 s12, 0x46800000
	v_add_f32_e64 v1, |v0|, s12
; %bb.961:
	s_or_b64 exec, exec, s[10:11]
                                        ; implicit-def: $vgpr5
.LBB16_962:
	s_andn2_saveexec_b64 s[8:9], s[8:9]
; %bb.963:
	s_mov_b32 s10, 0x7f800000
	v_mov_b32_e32 v1, 0x7e
	v_mov_b32_e32 v6, 0x7f
	v_cmp_lt_u32_e32 vcc, s10, v5
	v_cndmask_b32_e32 v1, v1, v6, vcc
; %bb.964:
	s_or_b64 exec, exec, s[8:9]
	v_lshrrev_b32_e32 v5, 24, v0
	s_movk_i32 s8, 0x80
	v_and_or_b32 v1, v5, s8, v1
	global_store_byte v[2:3], v1, off
.LBB16_965:
	s_mov_b64 s[8:9], 0
.LBB16_966:
	s_andn2_b64 vcc, exec, s[8:9]
	s_cbranch_vccnz .LBB16_976
; %bb.967:
	v_and_b32_e32 v5, 0x7fffffff, v0
	s_mov_b32 s8, 0x47800000
	v_cmp_gt_u32_e32 vcc, s8, v5
                                        ; implicit-def: $vgpr1
	s_and_saveexec_b64 s[8:9], vcc
	s_xor_b64 s[8:9], exec, s[8:9]
	s_cbranch_execz .LBB16_973
; %bb.968:
	s_mov_b32 s10, 0x387fffff
	v_cmp_lt_u32_e32 vcc, s10, v5
                                        ; implicit-def: $vgpr1
	s_and_saveexec_b64 s[10:11], vcc
	s_xor_b64 s[10:11], exec, s[10:11]
; %bb.969:
	v_bfe_u32 v1, v0, 21, 1
	s_mov_b32 s12, 0x80fffff
	v_add3_u32 v1, v0, v1, s12
	v_lshrrev_b32_e32 v1, 21, v1
; %bb.970:
	s_andn2_saveexec_b64 s[10:11], s[10:11]
; %bb.971:
	s_mov_b32 s12, 0x43000000
	v_add_f32_e64 v1, |v0|, s12
; %bb.972:
	s_or_b64 exec, exec, s[10:11]
                                        ; implicit-def: $vgpr5
.LBB16_973:
	s_andn2_saveexec_b64 s[8:9], s[8:9]
; %bb.974:
	s_mov_b32 s10, 0x7f800000
	v_mov_b32_e32 v1, 0x7c
	v_mov_b32_e32 v6, 0x7f
	v_cmp_lt_u32_e32 vcc, s10, v5
	v_cndmask_b32_e32 v1, v1, v6, vcc
; %bb.975:
	s_or_b64 exec, exec, s[8:9]
	v_lshrrev_b32_e32 v5, 24, v0
	s_movk_i32 s8, 0x80
	v_and_or_b32 v1, v5, s8, v1
	global_store_byte v[2:3], v1, off
.LBB16_976:
	s_mov_b64 s[8:9], 0
.LBB16_977:
	s_andn2_b64 vcc, exec, s[8:9]
	s_mov_b64 s[8:9], 0
	s_cbranch_vccnz .LBB16_985
; %bb.978:
	v_cmp_lt_i16_e32 vcc, 14, v4
	s_mov_b64 s[10:11], -1
	s_cbranch_vccz .LBB16_982
; %bb.979:
	v_cmp_eq_u16_e32 vcc, 15, v4
	s_mov_b64 s[4:5], -1
	s_cbranch_vccz .LBB16_981
; %bb.980:
	v_bfe_u32 v1, v0, 16, 1
	s_movk_i32 s4, 0x7fff
	v_add3_u32 v1, v0, v1, s4
	v_lshrrev_b32_e32 v1, 16, v1
	v_mov_b32_e32 v5, 0x7fc0
	v_cmp_o_f32_e32 vcc, v0, v0
	v_cndmask_b32_e32 v1, v5, v1, vcc
	global_store_short v[2:3], v1, off
	s_mov_b64 s[4:5], 0
.LBB16_981:
	s_mov_b64 s[10:11], 0
.LBB16_982:
	s_and_b64 vcc, exec, s[10:11]
	s_cbranch_vccz .LBB16_985
; %bb.983:
	v_cmp_ne_u16_e32 vcc, 11, v4
	s_andn2_b64 s[4:5], s[4:5], exec
	s_and_b64 s[10:11], vcc, exec
	s_mov_b64 s[8:9], -1
	s_or_b64 s[4:5], s[4:5], s[10:11]
	s_branch .LBB16_985
.LBB16_984:
	s_mov_b64 s[8:9], 0
.LBB16_985:
	s_andn2_b64 s[10:11], s[46:47], exec
	s_and_b64 s[4:5], s[4:5], exec
	s_and_b64 s[6:7], s[6:7], exec
	;; [unrolled: 1-line block ×3, first 2 shown]
	s_or_b64 s[46:47], s[10:11], s[4:5]
	s_or_b64 exec, exec, s[48:49]
	s_and_saveexec_b64 s[4:5], s[46:47]
	s_cbranch_execz .LBB16_924
.LBB16_986:
	s_or_b64 s[50:51], s[50:51], exec
	s_andn2_b64 s[8:9], s[8:9], exec
	s_trap 2
	s_or_b64 exec, exec, s[4:5]
	s_and_saveexec_b64 s[4:5], s[8:9]
	s_xor_b64 s[4:5], exec, s[4:5]
	s_cbranch_execnz .LBB16_925
.LBB16_987:
	s_or_b64 exec, exec, s[4:5]
	s_and_saveexec_b64 s[4:5], s[6:7]
	s_xor_b64 s[4:5], exec, s[4:5]
	s_cbranch_execz .LBB16_1025
.LBB16_988:
	v_cmp_gt_i16_e32 vcc, 5, v4
	s_mov_b64 s[6:7], -1
	s_cbranch_vccnz .LBB16_1009
; %bb.989:
	v_cmp_gt_i16_e32 vcc, 8, v4
	s_cbranch_vccnz .LBB16_999
; %bb.990:
	v_cmp_gt_i16_e32 vcc, 9, v4
	s_cbranch_vccnz .LBB16_996
; %bb.991:
	v_cmp_lt_i16_e32 vcc, 9, v4
	s_cbranch_vccz .LBB16_993
; %bb.992:
	v_mov_b32_e32 v8, 0
	s_waitcnt vmcnt(0)
	v_cvt_f64_f32_e32 v[6:7], v0
	v_mov_b32_e32 v9, v8
	s_mov_b64 s[6:7], 0
	global_store_dwordx4 v[2:3], v[6:9], off
.LBB16_993:
	s_andn2_b64 vcc, exec, s[6:7]
	s_cbranch_vccnz .LBB16_995
; %bb.994:
	s_waitcnt vmcnt(0)
	v_mov_b32_e32 v1, 0
	global_store_dwordx2 v[2:3], v[0:1], off
.LBB16_995:
	s_mov_b64 s[6:7], 0
.LBB16_996:
	s_andn2_b64 vcc, exec, s[6:7]
	s_cbranch_vccnz .LBB16_998
; %bb.997:
	s_waitcnt vmcnt(0)
	v_cvt_f16_f32_e32 v1, v0
	global_store_dword v[2:3], v1, off
.LBB16_998:
	s_mov_b64 s[6:7], 0
.LBB16_999:
	s_andn2_b64 vcc, exec, s[6:7]
	s_cbranch_vccnz .LBB16_1008
; %bb.1000:
	v_cmp_gt_i16_e32 vcc, 6, v4
	s_mov_b64 s[6:7], -1
	s_cbranch_vccnz .LBB16_1006
; %bb.1001:
	v_cmp_lt_i16_e32 vcc, 6, v4
	s_cbranch_vccz .LBB16_1003
; %bb.1002:
	s_waitcnt vmcnt(0)
	v_cvt_f64_f32_e32 v[6:7], v0
	s_mov_b64 s[6:7], 0
	global_store_dwordx2 v[2:3], v[6:7], off
.LBB16_1003:
	s_andn2_b64 vcc, exec, s[6:7]
	s_cbranch_vccnz .LBB16_1005
; %bb.1004:
	s_waitcnt vmcnt(0)
	global_store_dword v[2:3], v0, off
.LBB16_1005:
	s_mov_b64 s[6:7], 0
.LBB16_1006:
	s_andn2_b64 vcc, exec, s[6:7]
	s_cbranch_vccnz .LBB16_1008
; %bb.1007:
	s_waitcnt vmcnt(0)
	v_cvt_f16_f32_e32 v1, v0
	global_store_short v[2:3], v1, off
.LBB16_1008:
	s_mov_b64 s[6:7], 0
.LBB16_1009:
	s_andn2_b64 vcc, exec, s[6:7]
	s_cbranch_vccnz .LBB16_1025
; %bb.1010:
	v_cmp_gt_i16_e32 vcc, 2, v4
	s_mov_b64 s[6:7], -1
	s_cbranch_vccnz .LBB16_1020
; %bb.1011:
	v_cmp_gt_i16_e32 vcc, 3, v4
	s_cbranch_vccnz .LBB16_1017
; %bb.1012:
	v_cmp_lt_i16_e32 vcc, 3, v4
	s_cbranch_vccz .LBB16_1014
; %bb.1013:
	s_waitcnt vmcnt(0)
	v_trunc_f32_e32 v1, v0
	s_mov_b32 s6, 0x2f800000
	v_mul_f32_e64 v5, |v1|, s6
	v_floor_f32_e32 v5, v5
	s_mov_b32 s6, 0xcf800000
	v_cvt_u32_f32_e32 v6, v5
	v_fma_f32 v5, v5, s6, |v1|
	v_cvt_u32_f32_e32 v5, v5
	v_ashrrev_i32_e32 v1, 31, v1
	v_xor_b32_e32 v7, v6, v1
	s_mov_b64 s[6:7], 0
	v_xor_b32_e32 v5, v5, v1
	v_sub_co_u32_e32 v6, vcc, v5, v1
	v_subb_co_u32_e32 v7, vcc, v7, v1, vcc
	global_store_dwordx2 v[2:3], v[6:7], off
.LBB16_1014:
	s_andn2_b64 vcc, exec, s[6:7]
	s_cbranch_vccnz .LBB16_1016
; %bb.1015:
	s_waitcnt vmcnt(0)
	v_cvt_i32_f32_e32 v1, v0
	global_store_dword v[2:3], v1, off
.LBB16_1016:
	s_mov_b64 s[6:7], 0
.LBB16_1017:
	s_andn2_b64 vcc, exec, s[6:7]
	s_cbranch_vccnz .LBB16_1019
; %bb.1018:
	s_waitcnt vmcnt(0)
	v_cvt_i32_f32_e32 v1, v0
	global_store_short v[2:3], v1, off
.LBB16_1019:
	s_mov_b64 s[6:7], 0
.LBB16_1020:
	s_andn2_b64 vcc, exec, s[6:7]
	s_cbranch_vccnz .LBB16_1025
; %bb.1021:
	v_cmp_lt_i16_e32 vcc, 0, v4
	s_mov_b64 s[6:7], -1
	s_cbranch_vccz .LBB16_1023
; %bb.1022:
	s_waitcnt vmcnt(0)
	v_cvt_i32_f32_e32 v1, v0
	s_mov_b64 s[6:7], 0
	global_store_byte v[2:3], v1, off
.LBB16_1023:
	s_andn2_b64 vcc, exec, s[6:7]
	s_cbranch_vccnz .LBB16_1025
; %bb.1024:
	s_waitcnt vmcnt(0)
	v_trunc_f32_e32 v0, v0
	s_mov_b32 s6, 0x2f800000
	v_mul_f32_e64 v1, |v0|, s6
	v_floor_f32_e32 v1, v1
	s_mov_b32 s6, 0xcf800000
	v_fma_f32 v1, v1, s6, |v0|
	v_cvt_u32_f32_e32 v1, v1
	v_ashrrev_i32_e32 v0, 31, v0
	v_xor_b32_e32 v1, v1, v0
	v_sub_u32_e32 v0, v1, v0
	global_store_byte v[2:3], v0, off
.LBB16_1025:
	s_or_b64 exec, exec, s[4:5]
	s_and_b64 s[46:47], s[50:51], exec
                                        ; implicit-def: $vgpr45
                                        ; implicit-def: $vgpr46
                                        ; implicit-def: $vgpr44
.LBB16_1026:
	s_or_saveexec_b64 s[44:45], s[44:45]
	s_mov_b64 s[4:5], 0
                                        ; implicit-def: $vgpr4
                                        ; implicit-def: $vgpr2_vgpr3
                                        ; implicit-def: $vgpr0
	s_xor_b64 exec, exec, s[44:45]
	s_cbranch_execz .LBB16_1994
; %bb.1027:
	s_waitcnt vmcnt(0)
	v_mul_lo_u32 v1, s41, v45
	v_ashrrev_i32_e32 v0, 31, v1
	v_mov_b32_e32 v3, s39
	v_add_co_u32_e32 v2, vcc, s38, v1
	v_addc_co_u32_e32 v3, vcc, v3, v0, vcc
	v_cmp_gt_i16_e64 s[4:5], 11, v46
	s_and_b64 vcc, exec, s[4:5]
	s_cbranch_vccnz .LBB16_1034
; %bb.1028:
	v_cmp_lt_i16_e32 vcc, 25, v46
	s_mov_b64 s[8:9], 0
	s_cbranch_vccz .LBB16_1036
; %bb.1029:
	v_cmp_lt_i16_e32 vcc, 28, v46
	s_cbranch_vccz .LBB16_1037
; %bb.1030:
	v_cmp_lt_i16_e32 vcc, 43, v46
	;; [unrolled: 3-line block ×3, first 2 shown]
	s_cbranch_vccz .LBB16_1039
; %bb.1032:
	v_cmp_eq_u16_e32 vcc, 46, v46
	s_mov_b64 s[12:13], 0
	s_cbranch_vccz .LBB16_1042
; %bb.1033:
	global_load_dword v0, v[2:3], off
	s_mov_b64 s[6:7], 0
	s_mov_b64 s[10:11], -1
	s_waitcnt vmcnt(0)
	v_lshlrev_b32_e32 v0, 16, v0
	s_branch .LBB16_1043
.LBB16_1034:
	s_mov_b64 s[10:11], 0
                                        ; implicit-def: $vgpr0
	s_mov_b64 s[48:49], s[46:47]
	s_cbranch_execnz .LBB16_1106
.LBB16_1035:
	s_andn2_b64 vcc, exec, s[10:11]
	s_cbranch_vccz .LBB16_1151
	s_branch .LBB16_1992
.LBB16_1036:
	s_mov_b64 s[10:11], 0
	s_mov_b64 s[6:7], 0
                                        ; implicit-def: $vgpr0
	s_cbranch_execnz .LBB16_1071
	s_branch .LBB16_1102
.LBB16_1037:
	s_mov_b64 s[12:13], -1
	s_mov_b64 s[10:11], 0
	s_mov_b64 s[6:7], 0
                                        ; implicit-def: $vgpr0
	s_branch .LBB16_1052
.LBB16_1038:
	s_mov_b64 s[10:11], 0
	s_mov_b64 s[6:7], 0
                                        ; implicit-def: $vgpr0
	s_cbranch_execnz .LBB16_1048
	s_branch .LBB16_1051
.LBB16_1039:
	s_mov_b64 s[12:13], -1
	s_mov_b64 s[10:11], 0
	s_mov_b64 s[6:7], 0
                                        ; implicit-def: $vgpr0
	s_branch .LBB16_1043
.LBB16_1040:
	s_or_saveexec_b64 s[10:11], s[10:11]
                                        ; implicit-def: $sgpr12
	s_xor_b64 exec, exec, s[10:11]
	s_cbranch_execz .LBB16_939
.LBB16_1041:
	s_mov_b32 s12, 0x46000000
	v_add_f32_e64 v1, |v0|, s12
	v_and_b32_e32 v1, 0xff, v1
	v_cmp_ne_u32_e32 vcc, 0, v1
	s_andn2_b64 s[8:9], s[8:9], exec
	s_and_b64 s[14:15], vcc, exec
	s_mov_b32 s12, 0
	s_or_b64 s[8:9], s[8:9], s[14:15]
	s_or_b64 exec, exec, s[10:11]
	v_mov_b32_e32 v5, s12
	s_and_saveexec_b64 s[10:11], s[8:9]
	s_cbranch_execnz .LBB16_940
	s_branch .LBB16_941
.LBB16_1042:
	s_mov_b64 s[6:7], -1
                                        ; implicit-def: $vgpr0
	s_mov_b64 s[10:11], 0
.LBB16_1043:
	s_and_b64 vcc, exec, s[12:13]
	s_cbranch_vccz .LBB16_1046
; %bb.1044:
	v_cmp_eq_u16_e32 vcc, 44, v46
	s_cbranch_vccz .LBB16_1047
; %bb.1045:
	global_load_ubyte v0, v[2:3], off
	s_movk_i32 s10, 0xff
	v_mov_b32_e32 v4, 0x7f800001
	v_mov_b32_e32 v5, 0x400000
	s_mov_b64 s[6:7], 0
	s_waitcnt vmcnt(0)
	v_lshlrev_b32_e32 v6, 23, v0
	v_cmp_ne_u32_e32 vcc, s10, v0
	v_cndmask_b32_e32 v4, v4, v6, vcc
	v_cmp_ne_u32_e32 vcc, 0, v0
	v_cndmask_b32_e32 v0, v5, v4, vcc
	s_mov_b64 s[10:11], -1
.LBB16_1046:
	s_branch .LBB16_1051
.LBB16_1047:
	s_mov_b64 s[6:7], -1
                                        ; implicit-def: $vgpr0
	s_branch .LBB16_1051
.LBB16_1048:
	v_cmp_eq_u16_e32 vcc, 29, v46
	s_cbranch_vccz .LBB16_1050
; %bb.1049:
	global_load_dwordx2 v[4:5], v[2:3], off
	s_mov_b64 s[6:7], 0
	s_mov_b64 s[10:11], -1
	s_mov_b64 s[12:13], 0
	s_waitcnt vmcnt(0)
	v_ffbh_u32_e32 v0, v5
	v_min_u32_e32 v0, 32, v0
	v_lshlrev_b64 v[4:5], v0, v[4:5]
	v_min_u32_e32 v4, 1, v4
	v_or_b32_e32 v4, v5, v4
	v_cvt_f32_u32_e32 v4, v4
	v_sub_u32_e32 v0, 32, v0
	v_ldexp_f32 v0, v4, v0
	s_branch .LBB16_1052
.LBB16_1050:
	s_mov_b64 s[6:7], -1
                                        ; implicit-def: $vgpr0
.LBB16_1051:
	s_mov_b64 s[12:13], 0
.LBB16_1052:
	s_and_b64 vcc, exec, s[12:13]
	s_cbranch_vccz .LBB16_1070
; %bb.1053:
	v_cmp_gt_i16_e32 vcc, 27, v46
	s_cbranch_vccnz .LBB16_1056
; %bb.1054:
	v_cmp_lt_i16_e32 vcc, 27, v46
	s_cbranch_vccz .LBB16_1057
; %bb.1055:
	global_load_dword v0, v[2:3], off
	s_mov_b64 s[10:11], 0
	s_waitcnt vmcnt(0)
	v_cvt_f32_u32_e32 v0, v0
	s_branch .LBB16_1058
.LBB16_1056:
	s_mov_b64 s[10:11], -1
                                        ; implicit-def: $vgpr0
	s_branch .LBB16_1061
.LBB16_1057:
	s_mov_b64 s[10:11], -1
                                        ; implicit-def: $vgpr0
.LBB16_1058:
	s_andn2_b64 vcc, exec, s[10:11]
	s_cbranch_vccnz .LBB16_1060
; %bb.1059:
	global_load_ushort v0, v[2:3], off
	s_waitcnt vmcnt(0)
	v_cvt_f32_u32_e32 v0, v0
.LBB16_1060:
	s_mov_b64 s[10:11], 0
.LBB16_1061:
	s_andn2_b64 vcc, exec, s[10:11]
	s_cbranch_vccnz .LBB16_1069
; %bb.1062:
	global_load_ubyte v4, v[2:3], off
	s_movk_i32 s10, 0x7f
                                        ; implicit-def: $sgpr16
	s_waitcnt vmcnt(0)
	v_cmp_lt_i16_e32 vcc, s10, v4
	s_mov_b64 s[10:11], 0
	s_and_saveexec_b64 s[12:13], vcc
	s_xor_b64 s[12:13], exec, s[12:13]
	s_cbranch_execz .LBB16_1082
; %bb.1063:
	s_movk_i32 s10, 0x80
	v_cmp_eq_u16_e32 vcc, s10, v4
	s_mov_b64 s[10:11], -1
                                        ; implicit-def: $sgpr16
	s_and_saveexec_b64 s[14:15], vcc
; %bb.1064:
	s_mov_b32 s16, 0x7f800001
	s_xor_b64 s[10:11], exec, -1
; %bb.1065:
	s_or_b64 exec, exec, s[14:15]
	s_and_b64 s[10:11], s[10:11], exec
	s_or_saveexec_b64 s[12:13], s[12:13]
	v_mov_b32_e32 v0, s16
	s_xor_b64 exec, exec, s[12:13]
	s_cbranch_execnz .LBB16_1083
.LBB16_1066:
	s_or_b64 exec, exec, s[12:13]
	s_and_saveexec_b64 s[12:13], s[10:11]
	s_cbranch_execz .LBB16_1068
.LBB16_1067:
	v_lshlrev_b32_e32 v0, 24, v4
	v_and_b32_e32 v4, 0xffff, v4
	v_and_b32_e32 v5, 7, v4
	v_ffbh_u32_e32 v7, v5
	v_min_u32_e32 v7, 32, v7
	v_subrev_u32_e32 v8, 28, v7
	v_bfe_u32 v6, v4, 3, 4
	v_lshlrev_b32_e32 v4, v8, v4
	v_sub_u32_e32 v7, 29, v7
	v_and_b32_e32 v4, 7, v4
	v_cmp_eq_u32_e32 vcc, 0, v6
	v_cndmask_b32_e32 v6, v6, v7, vcc
	v_cndmask_b32_e32 v4, v5, v4, vcc
	v_mov_b32_e32 v5, 0x3b800000
	v_lshlrev_b32_e32 v4, 20, v4
	v_and_b32_e32 v0, 0x80000000, v0
	v_lshl_add_u32 v5, v6, 23, v5
	v_or3_b32 v0, v0, v5, v4
.LBB16_1068:
	s_or_b64 exec, exec, s[12:13]
.LBB16_1069:
	s_mov_b64 s[10:11], -1
.LBB16_1070:
	s_branch .LBB16_1102
.LBB16_1071:
	v_cmp_lt_i16_e32 vcc, 22, v46
	s_cbranch_vccz .LBB16_1081
; %bb.1072:
	v_cmp_gt_i16_e32 vcc, 24, v46
	s_cbranch_vccnz .LBB16_1084
; %bb.1073:
	v_cmp_lt_i16_e32 vcc, 24, v46
	s_cbranch_vccz .LBB16_1085
; %bb.1074:
	global_load_ubyte v4, v[2:3], off
	s_movk_i32 s8, 0x7f
                                        ; implicit-def: $sgpr14
	s_waitcnt vmcnt(0)
	v_cmp_lt_i16_e32 vcc, s8, v4
	s_mov_b64 s[8:9], 0
	s_and_saveexec_b64 s[10:11], vcc
	s_xor_b64 s[10:11], exec, s[10:11]
	s_cbranch_execz .LBB16_1096
; %bb.1075:
	s_movk_i32 s8, 0x80
	v_cmp_eq_u16_e32 vcc, s8, v4
	s_mov_b64 s[8:9], -1
                                        ; implicit-def: $sgpr14
	s_and_saveexec_b64 s[12:13], vcc
; %bb.1076:
	s_mov_b32 s14, 0x7f800001
	s_xor_b64 s[8:9], exec, -1
; %bb.1077:
	s_or_b64 exec, exec, s[12:13]
	s_and_b64 s[8:9], s[8:9], exec
	s_or_saveexec_b64 s[10:11], s[10:11]
	v_mov_b32_e32 v0, s14
	s_xor_b64 exec, exec, s[10:11]
	s_cbranch_execnz .LBB16_1097
.LBB16_1078:
	s_or_b64 exec, exec, s[10:11]
	s_and_saveexec_b64 s[10:11], s[8:9]
	s_cbranch_execz .LBB16_1080
.LBB16_1079:
	v_lshlrev_b32_e32 v0, 24, v4
	v_and_b32_e32 v4, 0xffff, v4
	v_and_b32_e32 v5, 3, v4
	v_ffbh_u32_e32 v7, v5
	v_min_u32_e32 v7, 32, v7
	v_subrev_u32_e32 v8, 29, v7
	v_bfe_u32 v6, v4, 2, 5
	v_lshlrev_b32_e32 v4, v8, v4
	v_sub_u32_e32 v7, 30, v7
	v_and_b32_e32 v4, 3, v4
	v_cmp_eq_u32_e32 vcc, 0, v6
	v_cndmask_b32_e32 v6, v6, v7, vcc
	v_cndmask_b32_e32 v4, v5, v4, vcc
	v_mov_b32_e32 v5, 0x37800000
	v_lshlrev_b32_e32 v4, 21, v4
	v_and_b32_e32 v0, 0x80000000, v0
	v_lshl_add_u32 v5, v6, 23, v5
	v_or3_b32 v0, v0, v5, v4
.LBB16_1080:
	s_or_b64 exec, exec, s[10:11]
	s_mov_b64 s[8:9], 0
	s_branch .LBB16_1086
.LBB16_1081:
                                        ; implicit-def: $vgpr0
	s_mov_b64 s[8:9], 0
	s_branch .LBB16_1092
.LBB16_1082:
	s_or_saveexec_b64 s[12:13], s[12:13]
	v_mov_b32_e32 v0, s16
	s_xor_b64 exec, exec, s[12:13]
	s_cbranch_execz .LBB16_1066
.LBB16_1083:
	v_cmp_ne_u16_e32 vcc, 0, v4
	s_andn2_b64 s[10:11], s[10:11], exec
	s_and_b64 s[14:15], vcc, exec
	v_mov_b32_e32 v0, 0
	s_or_b64 s[10:11], s[10:11], s[14:15]
	s_or_b64 exec, exec, s[12:13]
	s_and_saveexec_b64 s[12:13], s[10:11]
	s_cbranch_execnz .LBB16_1067
	s_branch .LBB16_1068
.LBB16_1084:
	s_mov_b64 s[8:9], -1
                                        ; implicit-def: $vgpr0
	s_branch .LBB16_1089
.LBB16_1085:
	s_mov_b64 s[8:9], -1
                                        ; implicit-def: $vgpr0
.LBB16_1086:
	s_and_b64 vcc, exec, s[8:9]
	s_cbranch_vccz .LBB16_1088
; %bb.1087:
	global_load_ubyte v0, v[2:3], off
	s_mov_b32 s8, 0x7f800000
	s_waitcnt vmcnt(0)
	v_lshlrev_b32_e32 v0, 24, v0
	v_and_b32_e32 v4, 0x7f000000, v0
	v_ffbh_u32_e32 v5, v4
	v_min_u32_e32 v5, 32, v5
	v_sub_u32_e64 v5, v5, 4 clamp
	v_lshlrev_b32_e32 v7, v5, v4
	v_lshlrev_b32_e32 v5, 23, v5
	v_lshrrev_b32_e32 v7, 4, v7
	v_add_u32_e32 v6, 0x1000000, v4
	v_sub_u32_e32 v5, v7, v5
	v_ashrrev_i32_e32 v6, 8, v6
	v_add_u32_e32 v5, 0x3c000000, v5
	v_and_or_b32 v5, v6, s8, v5
	v_cmp_ne_u32_e32 vcc, 0, v4
	v_cndmask_b32_e32 v4, 0, v5, vcc
	s_brev_b32 s8, 1
	v_and_or_b32 v0, v0, s8, v4
.LBB16_1088:
	s_mov_b64 s[8:9], 0
.LBB16_1089:
	s_andn2_b64 vcc, exec, s[8:9]
	s_cbranch_vccnz .LBB16_1091
; %bb.1090:
	global_load_ubyte v0, v[2:3], off
	s_movk_i32 s8, 0x7f00
	s_brev_b32 s9, 16
	s_waitcnt vmcnt(0)
	v_lshlrev_b16_e32 v4, 8, v0
	v_lshlrev_b32_e32 v0, 25, v0
	v_lshrrev_b32_e32 v5, 4, v0
	v_and_or_b32 v6, v4, s8, 0.5
	v_or_b32_e32 v5, 0x70000000, v5
	v_add_f32_e32 v6, -0.5, v6
	v_mul_f32_e32 v5, 0x7800000, v5
	v_cmp_gt_u32_e32 vcc, s9, v0
	v_bfe_i32 v4, v4, 0, 16
	v_cndmask_b32_e32 v0, v5, v6, vcc
	s_brev_b32 s8, 1
	v_and_or_b32 v0, v4, s8, v0
.LBB16_1091:
	s_mov_b64 s[10:11], -1
	s_mov_b64 s[8:9], 0
	s_cbranch_execnz .LBB16_1102
.LBB16_1092:
	v_cmp_lt_i16_e32 vcc, 14, v46
	s_cbranch_vccz .LBB16_1095
; %bb.1093:
	v_cmp_eq_u16_e32 vcc, 15, v46
	s_cbranch_vccz .LBB16_1098
; %bb.1094:
	global_load_ushort v0, v[2:3], off
	s_mov_b64 s[6:7], 0
	s_mov_b64 s[10:11], -1
	s_waitcnt vmcnt(0)
	v_lshlrev_b32_e32 v0, 16, v0
	s_branch .LBB16_1099
.LBB16_1095:
	s_mov_b64 s[12:13], -1
                                        ; implicit-def: $vgpr0
	s_branch .LBB16_1100
.LBB16_1096:
	s_or_saveexec_b64 s[10:11], s[10:11]
	v_mov_b32_e32 v0, s14
	s_xor_b64 exec, exec, s[10:11]
	s_cbranch_execz .LBB16_1078
.LBB16_1097:
	v_cmp_ne_u16_e32 vcc, 0, v4
	s_andn2_b64 s[8:9], s[8:9], exec
	s_and_b64 s[12:13], vcc, exec
	v_mov_b32_e32 v0, 0
	s_or_b64 s[8:9], s[8:9], s[12:13]
	s_or_b64 exec, exec, s[10:11]
	s_and_saveexec_b64 s[10:11], s[8:9]
	s_cbranch_execnz .LBB16_1079
	s_branch .LBB16_1080
.LBB16_1098:
	s_mov_b64 s[6:7], -1
                                        ; implicit-def: $vgpr0
.LBB16_1099:
	s_mov_b64 s[12:13], 0
.LBB16_1100:
	s_and_b64 vcc, exec, s[12:13]
	s_cbranch_vccz .LBB16_1102
; %bb.1101:
	v_cmp_ne_u16_e64 s[6:7], 11, v46
	s_mov_b64 s[8:9], -1
                                        ; implicit-def: $vgpr0
.LBB16_1102:
	s_and_b64 vcc, exec, s[6:7]
	s_mov_b64 s[48:49], s[46:47]
	s_cbranch_vccnz .LBB16_1163
; %bb.1103:
	s_andn2_b64 vcc, exec, s[8:9]
	s_cbranch_vccnz .LBB16_1105
.LBB16_1104:
	global_load_ubyte v0, v[2:3], off
	s_mov_b64 s[10:11], -1
	s_waitcnt vmcnt(0)
	v_cmp_ne_u16_e32 vcc, 0, v0
	v_cndmask_b32_e64 v0, 0, 1.0, vcc
.LBB16_1105:
	s_branch .LBB16_1035
.LBB16_1106:
	v_cmp_gt_i16_e32 vcc, 5, v46
	s_cbranch_vccnz .LBB16_1111
; %bb.1107:
	v_cmp_gt_i16_e32 vcc, 8, v46
	s_cbranch_vccnz .LBB16_1112
; %bb.1108:
	;; [unrolled: 3-line block ×3, first 2 shown]
	v_cmp_lt_i16_e32 vcc, 9, v46
	s_cbranch_vccz .LBB16_1114
; %bb.1110:
	global_load_dwordx2 v[4:5], v[2:3], off
	s_mov_b64 s[6:7], 0
	s_waitcnt vmcnt(0)
	v_cvt_f32_f64_e32 v0, v[4:5]
	s_branch .LBB16_1115
.LBB16_1111:
                                        ; implicit-def: $vgpr0
	s_branch .LBB16_1132
.LBB16_1112:
                                        ; implicit-def: $vgpr0
	s_branch .LBB16_1121
.LBB16_1113:
	s_mov_b64 s[6:7], -1
                                        ; implicit-def: $vgpr0
	s_branch .LBB16_1118
.LBB16_1114:
	s_mov_b64 s[6:7], -1
                                        ; implicit-def: $vgpr0
.LBB16_1115:
	s_andn2_b64 vcc, exec, s[6:7]
	s_cbranch_vccnz .LBB16_1117
; %bb.1116:
	global_load_dword v0, v[2:3], off
.LBB16_1117:
	s_mov_b64 s[6:7], 0
.LBB16_1118:
	s_andn2_b64 vcc, exec, s[6:7]
	s_cbranch_vccnz .LBB16_1120
; %bb.1119:
	global_load_dword v0, v[2:3], off
	s_waitcnt vmcnt(0)
	v_cvt_f32_f16_e32 v0, v0
.LBB16_1120:
	s_cbranch_execnz .LBB16_1131
.LBB16_1121:
	v_cmp_gt_i16_e32 vcc, 6, v46
	s_cbranch_vccnz .LBB16_1124
; %bb.1122:
	v_cmp_lt_i16_e32 vcc, 6, v46
	s_cbranch_vccz .LBB16_1125
; %bb.1123:
	global_load_dwordx2 v[4:5], v[2:3], off
	s_mov_b64 s[6:7], 0
	s_waitcnt vmcnt(0)
	v_cvt_f32_f64_e32 v0, v[4:5]
	s_branch .LBB16_1126
.LBB16_1124:
	s_mov_b64 s[6:7], -1
                                        ; implicit-def: $vgpr0
	s_branch .LBB16_1129
.LBB16_1125:
	s_mov_b64 s[6:7], -1
                                        ; implicit-def: $vgpr0
.LBB16_1126:
	s_andn2_b64 vcc, exec, s[6:7]
	s_cbranch_vccnz .LBB16_1128
; %bb.1127:
	global_load_dword v0, v[2:3], off
.LBB16_1128:
	s_mov_b64 s[6:7], 0
.LBB16_1129:
	s_andn2_b64 vcc, exec, s[6:7]
	s_cbranch_vccnz .LBB16_1131
; %bb.1130:
	global_load_ushort v0, v[2:3], off
	s_waitcnt vmcnt(0)
	v_cvt_f32_f16_e32 v0, v0
.LBB16_1131:
	s_cbranch_execnz .LBB16_1150
.LBB16_1132:
	v_cmp_gt_i16_e32 vcc, 2, v46
	s_cbranch_vccnz .LBB16_1136
; %bb.1133:
	v_cmp_gt_i16_e32 vcc, 3, v46
	s_cbranch_vccnz .LBB16_1137
; %bb.1134:
	v_cmp_lt_i16_e32 vcc, 3, v46
	s_cbranch_vccz .LBB16_1138
; %bb.1135:
	global_load_dwordx2 v[4:5], v[2:3], off
	s_mov_b64 s[6:7], 0
	s_waitcnt vmcnt(0)
	v_xor_b32_e32 v6, v4, v5
	v_ffbh_i32_e32 v0, v5
	v_ashrrev_i32_e32 v6, 31, v6
	v_add_u32_e32 v0, -1, v0
	v_add_u32_e32 v6, 32, v6
	v_min_u32_e32 v0, v0, v6
	v_lshlrev_b64 v[4:5], v0, v[4:5]
	v_min_u32_e32 v4, 1, v4
	v_or_b32_e32 v4, v5, v4
	v_cvt_f32_i32_e32 v4, v4
	v_sub_u32_e32 v0, 32, v0
	v_ldexp_f32 v0, v4, v0
	s_branch .LBB16_1139
.LBB16_1136:
                                        ; implicit-def: $vgpr0
	s_branch .LBB16_1145
.LBB16_1137:
	s_mov_b64 s[6:7], -1
                                        ; implicit-def: $vgpr0
	s_branch .LBB16_1142
.LBB16_1138:
	s_mov_b64 s[6:7], -1
                                        ; implicit-def: $vgpr0
.LBB16_1139:
	s_andn2_b64 vcc, exec, s[6:7]
	s_cbranch_vccnz .LBB16_1141
; %bb.1140:
	global_load_dword v0, v[2:3], off
	s_waitcnt vmcnt(0)
	v_cvt_f32_i32_e32 v0, v0
.LBB16_1141:
	s_mov_b64 s[6:7], 0
.LBB16_1142:
	s_andn2_b64 vcc, exec, s[6:7]
	s_cbranch_vccnz .LBB16_1144
; %bb.1143:
	global_load_sshort v0, v[2:3], off
	s_waitcnt vmcnt(0)
	v_cvt_f32_i32_e32 v0, v0
.LBB16_1144:
	s_cbranch_execnz .LBB16_1150
.LBB16_1145:
	v_cmp_lt_i16_e32 vcc, 0, v46
	s_cbranch_vccz .LBB16_1147
; %bb.1146:
	global_load_sbyte v0, v[2:3], off
	s_mov_b64 s[6:7], 0
	s_waitcnt vmcnt(0)
	v_cvt_f32_i32_e32 v0, v0
	s_branch .LBB16_1148
.LBB16_1147:
	s_mov_b64 s[6:7], -1
                                        ; implicit-def: $vgpr0
.LBB16_1148:
	s_andn2_b64 vcc, exec, s[6:7]
	s_cbranch_vccnz .LBB16_1150
; %bb.1149:
	global_load_ubyte v0, v[2:3], off
	s_waitcnt vmcnt(0)
	v_cvt_f32_ubyte0_e32 v0, v0
.LBB16_1150:
.LBB16_1151:
	s_lshl_b32 s16, s41, 7
	v_add_u32_e32 v1, s16, v1
	v_ashrrev_i32_e32 v3, 31, v1
	v_mov_b32_e32 v4, s39
	v_add_co_u32_e32 v2, vcc, s38, v1
	v_addc_co_u32_e32 v3, vcc, v4, v3, vcc
	s_and_b64 vcc, exec, s[4:5]
	s_cbranch_vccnz .LBB16_1158
; %bb.1152:
	v_cmp_lt_i16_e32 vcc, 25, v46
	s_mov_b64 s[8:9], 0
	s_cbranch_vccz .LBB16_1160
; %bb.1153:
	v_cmp_lt_i16_e32 vcc, 28, v46
	s_cbranch_vccz .LBB16_1161
; %bb.1154:
	v_cmp_lt_i16_e32 vcc, 43, v46
	;; [unrolled: 3-line block ×3, first 2 shown]
	s_cbranch_vccz .LBB16_1164
; %bb.1156:
	v_cmp_eq_u16_e32 vcc, 46, v46
	s_mov_b64 s[12:13], 0
	s_cbranch_vccz .LBB16_1167
; %bb.1157:
	global_load_dword v4, v[2:3], off
	s_mov_b64 s[6:7], 0
	s_mov_b64 s[10:11], -1
	s_waitcnt vmcnt(0)
	v_lshlrev_b32_e32 v41, 16, v4
	s_branch .LBB16_1168
.LBB16_1158:
	s_mov_b64 s[10:11], 0
                                        ; implicit-def: $vgpr41
	s_cbranch_execnz .LBB16_1233
.LBB16_1159:
	s_andn2_b64 vcc, exec, s[10:11]
	s_cbranch_vccnz .LBB16_1992
	s_branch .LBB16_1280
.LBB16_1160:
	s_mov_b64 s[10:11], 0
	s_mov_b64 s[6:7], 0
                                        ; implicit-def: $vgpr41
	s_cbranch_execnz .LBB16_1197
	s_branch .LBB16_1229
.LBB16_1161:
	s_mov_b64 s[12:13], -1
	s_mov_b64 s[10:11], 0
	s_mov_b64 s[6:7], 0
                                        ; implicit-def: $vgpr41
	s_branch .LBB16_1178
.LBB16_1162:
	s_mov_b64 s[12:13], -1
	s_mov_b64 s[10:11], 0
	s_mov_b64 s[6:7], 0
                                        ; implicit-def: $vgpr41
	s_branch .LBB16_1173
.LBB16_1163:
	s_or_b64 s[48:49], s[46:47], exec
	s_trap 2
                                        ; implicit-def: $vgpr0
	s_cbranch_execz .LBB16_1104
	s_branch .LBB16_1105
.LBB16_1164:
	s_mov_b64 s[12:13], -1
	s_mov_b64 s[10:11], 0
	s_mov_b64 s[6:7], 0
                                        ; implicit-def: $vgpr41
	s_branch .LBB16_1168
.LBB16_1165:
	s_or_saveexec_b64 s[12:13], s[12:13]
                                        ; implicit-def: $sgpr14
	s_xor_b64 exec, exec, s[12:13]
	s_cbranch_execz .LBB16_951
.LBB16_1166:
	s_mov_b32 s14, 0x42800000
	v_add_f32_e64 v1, |v0|, s14
	v_and_b32_e32 v1, 0xff, v1
	v_cmp_ne_u32_e32 vcc, 0, v1
	s_andn2_b64 s[10:11], s[10:11], exec
	s_and_b64 s[16:17], vcc, exec
	s_mov_b32 s14, 0
	s_or_b64 s[10:11], s[10:11], s[16:17]
	s_or_b64 exec, exec, s[12:13]
	v_mov_b32_e32 v5, s14
	s_and_saveexec_b64 s[12:13], s[10:11]
	s_cbranch_execnz .LBB16_952
	s_branch .LBB16_953
.LBB16_1167:
	s_mov_b64 s[6:7], -1
                                        ; implicit-def: $vgpr41
	s_mov_b64 s[10:11], 0
.LBB16_1168:
	s_and_b64 vcc, exec, s[12:13]
	s_cbranch_vccz .LBB16_1172
; %bb.1169:
	v_cmp_eq_u16_e32 vcc, 44, v46
	s_cbranch_vccz .LBB16_1171
; %bb.1170:
	global_load_ubyte v4, v[2:3], off
	s_movk_i32 s10, 0xff
	v_mov_b32_e32 v5, 0x7f800001
	v_mov_b32_e32 v6, 0x400000
	s_mov_b64 s[6:7], 0
	s_waitcnt vmcnt(0)
	v_lshlrev_b32_e32 v7, 23, v4
	v_cmp_ne_u32_e32 vcc, s10, v4
	v_cndmask_b32_e32 v5, v5, v7, vcc
	v_cmp_ne_u32_e32 vcc, 0, v4
	v_cndmask_b32_e32 v41, v6, v5, vcc
	s_mov_b64 s[10:11], -1
	s_branch .LBB16_1172
.LBB16_1171:
	s_mov_b64 s[6:7], -1
                                        ; implicit-def: $vgpr41
.LBB16_1172:
	s_mov_b64 s[12:13], 0
.LBB16_1173:
	s_and_b64 vcc, exec, s[12:13]
	s_cbranch_vccz .LBB16_1177
; %bb.1174:
	v_cmp_eq_u16_e32 vcc, 29, v46
	s_cbranch_vccz .LBB16_1176
; %bb.1175:
	global_load_dwordx2 v[4:5], v[2:3], off
	s_mov_b64 s[6:7], 0
	s_mov_b64 s[10:11], -1
	s_mov_b64 s[12:13], 0
	s_waitcnt vmcnt(0)
	v_ffbh_u32_e32 v6, v5
	v_min_u32_e32 v6, 32, v6
	v_lshlrev_b64 v[4:5], v6, v[4:5]
	v_min_u32_e32 v4, 1, v4
	v_or_b32_e32 v4, v5, v4
	v_cvt_f32_u32_e32 v4, v4
	v_sub_u32_e32 v5, 32, v6
	v_ldexp_f32 v41, v4, v5
	s_branch .LBB16_1178
.LBB16_1176:
	s_mov_b64 s[6:7], -1
                                        ; implicit-def: $vgpr41
.LBB16_1177:
	s_mov_b64 s[12:13], 0
.LBB16_1178:
	s_and_b64 vcc, exec, s[12:13]
	s_cbranch_vccz .LBB16_1196
; %bb.1179:
	v_cmp_gt_i16_e32 vcc, 27, v46
	s_cbranch_vccnz .LBB16_1182
; %bb.1180:
	v_cmp_lt_i16_e32 vcc, 27, v46
	s_cbranch_vccz .LBB16_1183
; %bb.1181:
	global_load_dword v4, v[2:3], off
	s_mov_b64 s[10:11], 0
	s_waitcnt vmcnt(0)
	v_cvt_f32_u32_e32 v41, v4
	s_branch .LBB16_1184
.LBB16_1182:
	s_mov_b64 s[10:11], -1
                                        ; implicit-def: $vgpr41
	s_branch .LBB16_1187
.LBB16_1183:
	s_mov_b64 s[10:11], -1
                                        ; implicit-def: $vgpr41
.LBB16_1184:
	s_andn2_b64 vcc, exec, s[10:11]
	s_cbranch_vccnz .LBB16_1186
; %bb.1185:
	global_load_ushort v4, v[2:3], off
	s_waitcnt vmcnt(0)
	v_cvt_f32_u32_e32 v41, v4
.LBB16_1186:
	s_mov_b64 s[10:11], 0
.LBB16_1187:
	s_andn2_b64 vcc, exec, s[10:11]
	s_cbranch_vccnz .LBB16_1195
; %bb.1188:
	global_load_ubyte v4, v[2:3], off
	s_movk_i32 s10, 0x7f
                                        ; implicit-def: $sgpr17
	s_waitcnt vmcnt(0)
	v_cmp_lt_i16_e32 vcc, s10, v4
	s_mov_b64 s[10:11], 0
	s_and_saveexec_b64 s[12:13], vcc
	s_xor_b64 s[12:13], exec, s[12:13]
	s_cbranch_execz .LBB16_1208
; %bb.1189:
	s_movk_i32 s10, 0x80
	v_cmp_eq_u16_e32 vcc, s10, v4
	s_mov_b64 s[10:11], -1
                                        ; implicit-def: $sgpr17
	s_and_saveexec_b64 s[14:15], vcc
; %bb.1190:
	s_mov_b32 s17, 0x7f800001
	s_xor_b64 s[10:11], exec, -1
; %bb.1191:
	s_or_b64 exec, exec, s[14:15]
	s_and_b64 s[10:11], s[10:11], exec
	s_or_saveexec_b64 s[12:13], s[12:13]
	v_mov_b32_e32 v41, s17
	s_xor_b64 exec, exec, s[12:13]
	s_cbranch_execnz .LBB16_1209
.LBB16_1192:
	s_or_b64 exec, exec, s[12:13]
	s_and_saveexec_b64 s[12:13], s[10:11]
	s_cbranch_execz .LBB16_1194
.LBB16_1193:
	v_lshlrev_b32_e32 v5, 24, v4
	v_and_b32_e32 v4, 0xffff, v4
	v_and_b32_e32 v6, 7, v4
	v_ffbh_u32_e32 v8, v6
	v_min_u32_e32 v8, 32, v8
	v_subrev_u32_e32 v9, 28, v8
	v_bfe_u32 v7, v4, 3, 4
	v_lshlrev_b32_e32 v4, v9, v4
	v_sub_u32_e32 v8, 29, v8
	v_and_b32_e32 v4, 7, v4
	v_cmp_eq_u32_e32 vcc, 0, v7
	v_cndmask_b32_e32 v7, v7, v8, vcc
	v_cndmask_b32_e32 v4, v6, v4, vcc
	v_mov_b32_e32 v6, 0x3b800000
	v_lshlrev_b32_e32 v4, 20, v4
	v_and_b32_e32 v5, 0x80000000, v5
	v_lshl_add_u32 v6, v7, 23, v6
	v_or3_b32 v41, v5, v6, v4
.LBB16_1194:
	s_or_b64 exec, exec, s[12:13]
.LBB16_1195:
	s_mov_b64 s[10:11], -1
.LBB16_1196:
	s_branch .LBB16_1229
.LBB16_1197:
	v_cmp_lt_i16_e32 vcc, 22, v46
	s_cbranch_vccz .LBB16_1207
; %bb.1198:
	v_cmp_gt_i16_e32 vcc, 24, v46
	s_cbranch_vccnz .LBB16_1210
; %bb.1199:
	v_cmp_lt_i16_e32 vcc, 24, v46
	s_cbranch_vccz .LBB16_1211
; %bb.1200:
	global_load_ubyte v4, v[2:3], off
	s_movk_i32 s8, 0x7f
                                        ; implicit-def: $sgpr14
	s_waitcnt vmcnt(0)
	v_cmp_lt_i16_e32 vcc, s8, v4
	s_mov_b64 s[8:9], 0
	s_and_saveexec_b64 s[10:11], vcc
	s_xor_b64 s[10:11], exec, s[10:11]
	s_cbranch_execz .LBB16_1223
; %bb.1201:
	s_movk_i32 s8, 0x80
	v_cmp_eq_u16_e32 vcc, s8, v4
	s_mov_b64 s[8:9], -1
                                        ; implicit-def: $sgpr14
	s_and_saveexec_b64 s[12:13], vcc
; %bb.1202:
	s_mov_b32 s14, 0x7f800001
	s_xor_b64 s[8:9], exec, -1
; %bb.1203:
	s_or_b64 exec, exec, s[12:13]
	s_and_b64 s[8:9], s[8:9], exec
	s_or_saveexec_b64 s[10:11], s[10:11]
	v_mov_b32_e32 v41, s14
	s_xor_b64 exec, exec, s[10:11]
	s_cbranch_execnz .LBB16_1224
.LBB16_1204:
	s_or_b64 exec, exec, s[10:11]
	s_and_saveexec_b64 s[10:11], s[8:9]
	s_cbranch_execz .LBB16_1206
.LBB16_1205:
	v_lshlrev_b32_e32 v5, 24, v4
	v_and_b32_e32 v4, 0xffff, v4
	v_and_b32_e32 v6, 3, v4
	v_ffbh_u32_e32 v8, v6
	v_min_u32_e32 v8, 32, v8
	v_subrev_u32_e32 v9, 29, v8
	v_bfe_u32 v7, v4, 2, 5
	v_lshlrev_b32_e32 v4, v9, v4
	v_sub_u32_e32 v8, 30, v8
	v_and_b32_e32 v4, 3, v4
	v_cmp_eq_u32_e32 vcc, 0, v7
	v_cndmask_b32_e32 v7, v7, v8, vcc
	v_cndmask_b32_e32 v4, v6, v4, vcc
	v_mov_b32_e32 v6, 0x37800000
	v_lshlrev_b32_e32 v4, 21, v4
	v_and_b32_e32 v5, 0x80000000, v5
	v_lshl_add_u32 v6, v7, 23, v6
	v_or3_b32 v41, v5, v6, v4
.LBB16_1206:
	s_or_b64 exec, exec, s[10:11]
	s_mov_b64 s[8:9], 0
	s_branch .LBB16_1212
.LBB16_1207:
	s_mov_b64 s[8:9], -1
                                        ; implicit-def: $vgpr41
	s_branch .LBB16_1218
.LBB16_1208:
	s_or_saveexec_b64 s[12:13], s[12:13]
	v_mov_b32_e32 v41, s17
	s_xor_b64 exec, exec, s[12:13]
	s_cbranch_execz .LBB16_1192
.LBB16_1209:
	v_cmp_ne_u16_e32 vcc, 0, v4
	s_andn2_b64 s[10:11], s[10:11], exec
	s_and_b64 s[14:15], vcc, exec
	v_mov_b32_e32 v41, 0
	s_or_b64 s[10:11], s[10:11], s[14:15]
	s_or_b64 exec, exec, s[12:13]
	s_and_saveexec_b64 s[12:13], s[10:11]
	s_cbranch_execnz .LBB16_1193
	s_branch .LBB16_1194
.LBB16_1210:
	s_mov_b64 s[8:9], -1
                                        ; implicit-def: $vgpr41
	s_branch .LBB16_1215
.LBB16_1211:
	s_mov_b64 s[8:9], -1
                                        ; implicit-def: $vgpr41
.LBB16_1212:
	s_and_b64 vcc, exec, s[8:9]
	s_cbranch_vccz .LBB16_1214
; %bb.1213:
	global_load_ubyte v4, v[2:3], off
	s_mov_b32 s8, 0x7f800000
	s_waitcnt vmcnt(0)
	v_lshlrev_b32_e32 v4, 24, v4
	v_and_b32_e32 v5, 0x7f000000, v4
	v_ffbh_u32_e32 v6, v5
	v_min_u32_e32 v6, 32, v6
	v_sub_u32_e64 v6, v6, 4 clamp
	v_lshlrev_b32_e32 v8, v6, v5
	v_lshlrev_b32_e32 v6, 23, v6
	v_lshrrev_b32_e32 v8, 4, v8
	v_add_u32_e32 v7, 0x1000000, v5
	v_sub_u32_e32 v6, v8, v6
	v_ashrrev_i32_e32 v7, 8, v7
	v_add_u32_e32 v6, 0x3c000000, v6
	v_and_or_b32 v6, v7, s8, v6
	v_cmp_ne_u32_e32 vcc, 0, v5
	v_cndmask_b32_e32 v5, 0, v6, vcc
	s_brev_b32 s8, 1
	v_and_or_b32 v41, v4, s8, v5
.LBB16_1214:
	s_mov_b64 s[8:9], 0
.LBB16_1215:
	s_andn2_b64 vcc, exec, s[8:9]
	s_cbranch_vccnz .LBB16_1217
; %bb.1216:
	global_load_ubyte v4, v[2:3], off
	s_movk_i32 s8, 0x7f00
	s_brev_b32 s9, 16
	s_waitcnt vmcnt(0)
	v_lshlrev_b16_e32 v5, 8, v4
	v_lshlrev_b32_e32 v4, 25, v4
	v_lshrrev_b32_e32 v6, 4, v4
	v_and_or_b32 v7, v5, s8, 0.5
	v_or_b32_e32 v6, 0x70000000, v6
	v_add_f32_e32 v7, -0.5, v7
	v_mul_f32_e32 v6, 0x7800000, v6
	v_cmp_gt_u32_e32 vcc, s9, v4
	v_bfe_i32 v5, v5, 0, 16
	v_cndmask_b32_e32 v4, v6, v7, vcc
	s_brev_b32 s8, 1
	v_and_or_b32 v41, v5, s8, v4
.LBB16_1217:
	s_mov_b64 s[8:9], 0
	s_mov_b64 s[10:11], -1
.LBB16_1218:
	s_andn2_b64 vcc, exec, s[8:9]
	s_mov_b64 s[8:9], 0
	s_cbranch_vccnz .LBB16_1229
; %bb.1219:
	v_cmp_lt_i16_e32 vcc, 14, v46
	s_cbranch_vccz .LBB16_1222
; %bb.1220:
	v_cmp_eq_u16_e32 vcc, 15, v46
	s_cbranch_vccz .LBB16_1225
; %bb.1221:
	global_load_ushort v4, v[2:3], off
	s_mov_b64 s[6:7], 0
	s_mov_b64 s[10:11], -1
	s_waitcnt vmcnt(0)
	v_lshlrev_b32_e32 v41, 16, v4
	s_branch .LBB16_1226
.LBB16_1222:
	s_mov_b64 s[12:13], -1
                                        ; implicit-def: $vgpr41
	s_branch .LBB16_1227
.LBB16_1223:
	s_or_saveexec_b64 s[10:11], s[10:11]
	v_mov_b32_e32 v41, s14
	s_xor_b64 exec, exec, s[10:11]
	s_cbranch_execz .LBB16_1204
.LBB16_1224:
	v_cmp_ne_u16_e32 vcc, 0, v4
	s_andn2_b64 s[8:9], s[8:9], exec
	s_and_b64 s[12:13], vcc, exec
	v_mov_b32_e32 v41, 0
	s_or_b64 s[8:9], s[8:9], s[12:13]
	s_or_b64 exec, exec, s[10:11]
	s_and_saveexec_b64 s[10:11], s[8:9]
	s_cbranch_execnz .LBB16_1205
	s_branch .LBB16_1206
.LBB16_1225:
	s_mov_b64 s[6:7], -1
                                        ; implicit-def: $vgpr41
.LBB16_1226:
	s_mov_b64 s[12:13], 0
.LBB16_1227:
	s_and_b64 vcc, exec, s[12:13]
	s_cbranch_vccz .LBB16_1229
; %bb.1228:
	v_cmp_ne_u16_e64 s[6:7], 11, v46
	s_mov_b64 s[8:9], -1
                                        ; implicit-def: $vgpr41
.LBB16_1229:
	s_and_b64 vcc, exec, s[6:7]
	s_cbranch_vccnz .LBB16_1292
; %bb.1230:
	s_andn2_b64 vcc, exec, s[8:9]
	s_cbranch_vccnz .LBB16_1232
.LBB16_1231:
	global_load_ubyte v4, v[2:3], off
	s_mov_b64 s[10:11], -1
	s_waitcnt vmcnt(0)
	v_cmp_ne_u16_e32 vcc, 0, v4
	v_cndmask_b32_e64 v41, 0, 1.0, vcc
.LBB16_1232:
	s_branch .LBB16_1159
.LBB16_1233:
	v_cmp_gt_i16_e32 vcc, 5, v46
	s_cbranch_vccnz .LBB16_1238
; %bb.1234:
	v_cmp_gt_i16_e32 vcc, 8, v46
	s_cbranch_vccnz .LBB16_1239
; %bb.1235:
	;; [unrolled: 3-line block ×3, first 2 shown]
	v_cmp_lt_i16_e32 vcc, 9, v46
	s_cbranch_vccz .LBB16_1241
; %bb.1237:
	global_load_dwordx2 v[4:5], v[2:3], off
	s_mov_b64 s[6:7], 0
	s_waitcnt vmcnt(0)
	v_cvt_f32_f64_e32 v41, v[4:5]
	s_branch .LBB16_1242
.LBB16_1238:
                                        ; implicit-def: $vgpr41
	s_branch .LBB16_1260
.LBB16_1239:
	s_mov_b64 s[6:7], -1
                                        ; implicit-def: $vgpr41
	s_branch .LBB16_1248
.LBB16_1240:
	s_mov_b64 s[6:7], -1
                                        ; implicit-def: $vgpr41
	s_branch .LBB16_1245
.LBB16_1241:
	s_mov_b64 s[6:7], -1
                                        ; implicit-def: $vgpr41
.LBB16_1242:
	s_andn2_b64 vcc, exec, s[6:7]
	s_cbranch_vccnz .LBB16_1244
; %bb.1243:
	global_load_dword v41, v[2:3], off
.LBB16_1244:
	s_mov_b64 s[6:7], 0
.LBB16_1245:
	s_andn2_b64 vcc, exec, s[6:7]
	s_cbranch_vccnz .LBB16_1247
; %bb.1246:
	global_load_dword v4, v[2:3], off
	s_waitcnt vmcnt(0)
	v_cvt_f32_f16_e32 v41, v4
.LBB16_1247:
	s_mov_b64 s[6:7], 0
.LBB16_1248:
	s_andn2_b64 vcc, exec, s[6:7]
	s_cbranch_vccnz .LBB16_1259
; %bb.1249:
	v_cmp_gt_i16_e32 vcc, 6, v46
	s_cbranch_vccnz .LBB16_1252
; %bb.1250:
	v_cmp_lt_i16_e32 vcc, 6, v46
	s_cbranch_vccz .LBB16_1253
; %bb.1251:
	global_load_dwordx2 v[4:5], v[2:3], off
	s_mov_b64 s[6:7], 0
	s_waitcnt vmcnt(0)
	v_cvt_f32_f64_e32 v41, v[4:5]
	s_branch .LBB16_1254
.LBB16_1252:
	s_mov_b64 s[6:7], -1
                                        ; implicit-def: $vgpr41
	s_branch .LBB16_1257
.LBB16_1253:
	s_mov_b64 s[6:7], -1
                                        ; implicit-def: $vgpr41
.LBB16_1254:
	s_andn2_b64 vcc, exec, s[6:7]
	s_cbranch_vccnz .LBB16_1256
; %bb.1255:
	global_load_dword v41, v[2:3], off
.LBB16_1256:
	s_mov_b64 s[6:7], 0
.LBB16_1257:
	s_andn2_b64 vcc, exec, s[6:7]
	s_cbranch_vccnz .LBB16_1259
; %bb.1258:
	global_load_ushort v4, v[2:3], off
	s_waitcnt vmcnt(0)
	v_cvt_f32_f16_e32 v41, v4
.LBB16_1259:
	s_cbranch_execnz .LBB16_1279
.LBB16_1260:
	v_cmp_gt_i16_e32 vcc, 2, v46
	s_cbranch_vccnz .LBB16_1264
; %bb.1261:
	v_cmp_gt_i16_e32 vcc, 3, v46
	s_cbranch_vccnz .LBB16_1265
; %bb.1262:
	v_cmp_lt_i16_e32 vcc, 3, v46
	s_cbranch_vccz .LBB16_1266
; %bb.1263:
	global_load_dwordx2 v[4:5], v[2:3], off
	s_mov_b64 s[6:7], 0
	s_waitcnt vmcnt(0)
	v_xor_b32_e32 v7, v4, v5
	v_ffbh_i32_e32 v6, v5
	v_ashrrev_i32_e32 v7, 31, v7
	v_add_u32_e32 v6, -1, v6
	v_add_u32_e32 v7, 32, v7
	v_min_u32_e32 v6, v6, v7
	v_lshlrev_b64 v[4:5], v6, v[4:5]
	v_min_u32_e32 v4, 1, v4
	v_or_b32_e32 v4, v5, v4
	v_cvt_f32_i32_e32 v4, v4
	v_sub_u32_e32 v5, 32, v6
	v_ldexp_f32 v41, v4, v5
	s_branch .LBB16_1267
.LBB16_1264:
	s_mov_b64 s[6:7], -1
                                        ; implicit-def: $vgpr41
	s_branch .LBB16_1273
.LBB16_1265:
	s_mov_b64 s[6:7], -1
                                        ; implicit-def: $vgpr41
	s_branch .LBB16_1270
.LBB16_1266:
	s_mov_b64 s[6:7], -1
                                        ; implicit-def: $vgpr41
.LBB16_1267:
	s_andn2_b64 vcc, exec, s[6:7]
	s_cbranch_vccnz .LBB16_1269
; %bb.1268:
	global_load_dword v4, v[2:3], off
	s_waitcnt vmcnt(0)
	v_cvt_f32_i32_e32 v41, v4
.LBB16_1269:
	s_mov_b64 s[6:7], 0
.LBB16_1270:
	s_andn2_b64 vcc, exec, s[6:7]
	s_cbranch_vccnz .LBB16_1272
; %bb.1271:
	global_load_sshort v4, v[2:3], off
	s_waitcnt vmcnt(0)
	v_cvt_f32_i32_e32 v41, v4
.LBB16_1272:
	s_mov_b64 s[6:7], 0
.LBB16_1273:
	s_andn2_b64 vcc, exec, s[6:7]
	s_cbranch_vccnz .LBB16_1279
; %bb.1274:
	v_cmp_lt_i16_e32 vcc, 0, v46
	s_cbranch_vccz .LBB16_1276
; %bb.1275:
	global_load_sbyte v4, v[2:3], off
	s_mov_b64 s[6:7], 0
	s_waitcnt vmcnt(0)
	v_cvt_f32_i32_e32 v41, v4
	s_branch .LBB16_1277
.LBB16_1276:
	s_mov_b64 s[6:7], -1
                                        ; implicit-def: $vgpr41
.LBB16_1277:
	s_andn2_b64 vcc, exec, s[6:7]
	s_cbranch_vccnz .LBB16_1279
; %bb.1278:
	global_load_ubyte v2, v[2:3], off
	s_waitcnt vmcnt(0)
	v_cvt_f32_ubyte0_e32 v41, v2
.LBB16_1279:
.LBB16_1280:
	v_add_u32_e32 v1, s16, v1
	v_ashrrev_i32_e32 v3, 31, v1
	v_mov_b32_e32 v4, s39
	v_add_co_u32_e32 v2, vcc, s38, v1
	v_addc_co_u32_e32 v3, vcc, v4, v3, vcc
	s_and_b64 vcc, exec, s[4:5]
	s_cbranch_vccnz .LBB16_1287
; %bb.1281:
	v_cmp_lt_i16_e32 vcc, 25, v46
	s_mov_b64 s[8:9], 0
	s_cbranch_vccz .LBB16_1289
; %bb.1282:
	v_cmp_lt_i16_e32 vcc, 28, v46
	s_cbranch_vccz .LBB16_1290
; %bb.1283:
	v_cmp_lt_i16_e32 vcc, 43, v46
	s_cbranch_vccz .LBB16_1291
; %bb.1284:
	v_cmp_lt_i16_e32 vcc, 45, v46
	s_cbranch_vccz .LBB16_1293
; %bb.1285:
	v_cmp_eq_u16_e32 vcc, 46, v46
	s_mov_b64 s[12:13], 0
	s_cbranch_vccz .LBB16_1294
; %bb.1286:
	global_load_dword v4, v[2:3], off
	s_mov_b64 s[6:7], 0
	s_mov_b64 s[10:11], -1
	s_waitcnt vmcnt(0)
	v_lshlrev_b32_e32 v42, 16, v4
	s_branch .LBB16_1295
.LBB16_1287:
	s_mov_b64 s[10:11], 0
                                        ; implicit-def: $vgpr42
	s_cbranch_execnz .LBB16_1361
.LBB16_1288:
	s_andn2_b64 vcc, exec, s[10:11]
	s_cbranch_vccnz .LBB16_1992
	s_branch .LBB16_1409
.LBB16_1289:
	s_mov_b64 s[12:13], -1
	s_mov_b64 s[10:11], 0
	s_mov_b64 s[6:7], 0
                                        ; implicit-def: $vgpr42
	s_branch .LBB16_1324
.LBB16_1290:
	s_mov_b64 s[12:13], -1
	s_mov_b64 s[10:11], 0
	s_mov_b64 s[6:7], 0
                                        ; implicit-def: $vgpr42
	s_branch .LBB16_1305
.LBB16_1291:
	s_mov_b64 s[12:13], -1
	s_mov_b64 s[10:11], 0
	s_mov_b64 s[6:7], 0
                                        ; implicit-def: $vgpr42
	s_branch .LBB16_1300
.LBB16_1292:
	s_trap 2
	s_or_b64 s[48:49], s[48:49], exec
                                        ; implicit-def: $vgpr41
	s_cbranch_execz .LBB16_1231
	s_branch .LBB16_1232
.LBB16_1293:
	s_mov_b64 s[12:13], -1
	s_mov_b64 s[10:11], 0
	s_mov_b64 s[6:7], 0
                                        ; implicit-def: $vgpr42
	s_branch .LBB16_1295
.LBB16_1294:
	s_mov_b64 s[6:7], -1
                                        ; implicit-def: $vgpr42
	s_mov_b64 s[10:11], 0
.LBB16_1295:
	s_and_b64 vcc, exec, s[12:13]
	s_cbranch_vccz .LBB16_1299
; %bb.1296:
	v_cmp_eq_u16_e32 vcc, 44, v46
	s_cbranch_vccz .LBB16_1298
; %bb.1297:
	global_load_ubyte v4, v[2:3], off
	s_movk_i32 s10, 0xff
	v_mov_b32_e32 v5, 0x7f800001
	v_mov_b32_e32 v6, 0x400000
	s_mov_b64 s[6:7], 0
	s_waitcnt vmcnt(0)
	v_lshlrev_b32_e32 v7, 23, v4
	v_cmp_ne_u32_e32 vcc, s10, v4
	v_cndmask_b32_e32 v5, v5, v7, vcc
	v_cmp_ne_u32_e32 vcc, 0, v4
	v_cndmask_b32_e32 v42, v6, v5, vcc
	s_mov_b64 s[10:11], -1
	s_branch .LBB16_1299
.LBB16_1298:
	s_mov_b64 s[6:7], -1
                                        ; implicit-def: $vgpr42
.LBB16_1299:
	s_mov_b64 s[12:13], 0
.LBB16_1300:
	s_and_b64 vcc, exec, s[12:13]
	s_cbranch_vccz .LBB16_1304
; %bb.1301:
	v_cmp_eq_u16_e32 vcc, 29, v46
	s_cbranch_vccz .LBB16_1303
; %bb.1302:
	global_load_dwordx2 v[4:5], v[2:3], off
	s_mov_b64 s[6:7], 0
	s_mov_b64 s[10:11], -1
	s_mov_b64 s[12:13], 0
	s_waitcnt vmcnt(0)
	v_ffbh_u32_e32 v6, v5
	v_min_u32_e32 v6, 32, v6
	v_lshlrev_b64 v[4:5], v6, v[4:5]
	v_min_u32_e32 v4, 1, v4
	v_or_b32_e32 v4, v5, v4
	v_cvt_f32_u32_e32 v4, v4
	v_sub_u32_e32 v5, 32, v6
	v_ldexp_f32 v42, v4, v5
	s_branch .LBB16_1305
.LBB16_1303:
	s_mov_b64 s[6:7], -1
                                        ; implicit-def: $vgpr42
.LBB16_1304:
	s_mov_b64 s[12:13], 0
.LBB16_1305:
	s_and_b64 vcc, exec, s[12:13]
	s_cbranch_vccz .LBB16_1323
; %bb.1306:
	v_cmp_gt_i16_e32 vcc, 27, v46
	s_cbranch_vccnz .LBB16_1309
; %bb.1307:
	v_cmp_lt_i16_e32 vcc, 27, v46
	s_cbranch_vccz .LBB16_1310
; %bb.1308:
	global_load_dword v4, v[2:3], off
	s_mov_b64 s[10:11], 0
	s_waitcnt vmcnt(0)
	v_cvt_f32_u32_e32 v42, v4
	s_branch .LBB16_1311
.LBB16_1309:
	s_mov_b64 s[10:11], -1
                                        ; implicit-def: $vgpr42
	s_branch .LBB16_1314
.LBB16_1310:
	s_mov_b64 s[10:11], -1
                                        ; implicit-def: $vgpr42
.LBB16_1311:
	s_andn2_b64 vcc, exec, s[10:11]
	s_cbranch_vccnz .LBB16_1313
; %bb.1312:
	global_load_ushort v4, v[2:3], off
	s_waitcnt vmcnt(0)
	v_cvt_f32_u32_e32 v42, v4
.LBB16_1313:
	s_mov_b64 s[10:11], 0
.LBB16_1314:
	s_andn2_b64 vcc, exec, s[10:11]
	s_cbranch_vccnz .LBB16_1322
; %bb.1315:
	global_load_ubyte v4, v[2:3], off
	s_movk_i32 s10, 0x7f
                                        ; implicit-def: $sgpr17
	s_waitcnt vmcnt(0)
	v_cmp_lt_i16_e32 vcc, s10, v4
	s_mov_b64 s[10:11], 0
	s_and_saveexec_b64 s[12:13], vcc
	s_xor_b64 s[12:13], exec, s[12:13]
	s_cbranch_execz .LBB16_1336
; %bb.1316:
	s_movk_i32 s10, 0x80
	v_cmp_eq_u16_e32 vcc, s10, v4
	s_mov_b64 s[10:11], -1
                                        ; implicit-def: $sgpr17
	s_and_saveexec_b64 s[14:15], vcc
; %bb.1317:
	s_mov_b32 s17, 0x7f800001
	s_xor_b64 s[10:11], exec, -1
; %bb.1318:
	s_or_b64 exec, exec, s[14:15]
	s_and_b64 s[10:11], s[10:11], exec
	s_or_saveexec_b64 s[12:13], s[12:13]
	v_mov_b32_e32 v42, s17
	s_xor_b64 exec, exec, s[12:13]
	s_cbranch_execnz .LBB16_1337
.LBB16_1319:
	s_or_b64 exec, exec, s[12:13]
	s_and_saveexec_b64 s[12:13], s[10:11]
	s_cbranch_execz .LBB16_1321
.LBB16_1320:
	v_lshlrev_b32_e32 v5, 24, v4
	v_and_b32_e32 v4, 0xffff, v4
	v_and_b32_e32 v6, 7, v4
	v_ffbh_u32_e32 v8, v6
	v_min_u32_e32 v8, 32, v8
	v_subrev_u32_e32 v9, 28, v8
	v_bfe_u32 v7, v4, 3, 4
	v_lshlrev_b32_e32 v4, v9, v4
	v_sub_u32_e32 v8, 29, v8
	v_and_b32_e32 v4, 7, v4
	v_cmp_eq_u32_e32 vcc, 0, v7
	v_cndmask_b32_e32 v7, v7, v8, vcc
	v_cndmask_b32_e32 v4, v6, v4, vcc
	v_mov_b32_e32 v6, 0x3b800000
	v_lshlrev_b32_e32 v4, 20, v4
	v_and_b32_e32 v5, 0x80000000, v5
	v_lshl_add_u32 v6, v7, 23, v6
	v_or3_b32 v42, v5, v6, v4
.LBB16_1321:
	s_or_b64 exec, exec, s[12:13]
.LBB16_1322:
	s_mov_b64 s[10:11], -1
.LBB16_1323:
	s_mov_b64 s[12:13], 0
.LBB16_1324:
	s_and_b64 vcc, exec, s[12:13]
	s_cbranch_vccz .LBB16_1357
; %bb.1325:
	v_cmp_lt_i16_e32 vcc, 22, v46
	s_cbranch_vccz .LBB16_1335
; %bb.1326:
	v_cmp_gt_i16_e32 vcc, 24, v46
	s_cbranch_vccnz .LBB16_1338
; %bb.1327:
	v_cmp_lt_i16_e32 vcc, 24, v46
	s_cbranch_vccz .LBB16_1339
; %bb.1328:
	global_load_ubyte v4, v[2:3], off
	s_movk_i32 s8, 0x7f
                                        ; implicit-def: $sgpr14
	s_waitcnt vmcnt(0)
	v_cmp_lt_i16_e32 vcc, s8, v4
	s_mov_b64 s[8:9], 0
	s_and_saveexec_b64 s[10:11], vcc
	s_xor_b64 s[10:11], exec, s[10:11]
	s_cbranch_execz .LBB16_1351
; %bb.1329:
	s_movk_i32 s8, 0x80
	v_cmp_eq_u16_e32 vcc, s8, v4
	s_mov_b64 s[8:9], -1
                                        ; implicit-def: $sgpr14
	s_and_saveexec_b64 s[12:13], vcc
; %bb.1330:
	s_mov_b32 s14, 0x7f800001
	s_xor_b64 s[8:9], exec, -1
; %bb.1331:
	s_or_b64 exec, exec, s[12:13]
	s_and_b64 s[8:9], s[8:9], exec
	s_or_saveexec_b64 s[10:11], s[10:11]
	v_mov_b32_e32 v42, s14
	s_xor_b64 exec, exec, s[10:11]
	s_cbranch_execnz .LBB16_1352
.LBB16_1332:
	s_or_b64 exec, exec, s[10:11]
	s_and_saveexec_b64 s[10:11], s[8:9]
	s_cbranch_execz .LBB16_1334
.LBB16_1333:
	v_lshlrev_b32_e32 v5, 24, v4
	v_and_b32_e32 v4, 0xffff, v4
	v_and_b32_e32 v6, 3, v4
	v_ffbh_u32_e32 v8, v6
	v_min_u32_e32 v8, 32, v8
	v_subrev_u32_e32 v9, 29, v8
	v_bfe_u32 v7, v4, 2, 5
	v_lshlrev_b32_e32 v4, v9, v4
	v_sub_u32_e32 v8, 30, v8
	v_and_b32_e32 v4, 3, v4
	v_cmp_eq_u32_e32 vcc, 0, v7
	v_cndmask_b32_e32 v7, v7, v8, vcc
	v_cndmask_b32_e32 v4, v6, v4, vcc
	v_mov_b32_e32 v6, 0x37800000
	v_lshlrev_b32_e32 v4, 21, v4
	v_and_b32_e32 v5, 0x80000000, v5
	v_lshl_add_u32 v6, v7, 23, v6
	v_or3_b32 v42, v5, v6, v4
.LBB16_1334:
	s_or_b64 exec, exec, s[10:11]
	s_mov_b64 s[8:9], 0
	s_branch .LBB16_1340
.LBB16_1335:
	s_mov_b64 s[8:9], -1
                                        ; implicit-def: $vgpr42
	s_branch .LBB16_1346
.LBB16_1336:
	s_or_saveexec_b64 s[12:13], s[12:13]
	v_mov_b32_e32 v42, s17
	s_xor_b64 exec, exec, s[12:13]
	s_cbranch_execz .LBB16_1319
.LBB16_1337:
	v_cmp_ne_u16_e32 vcc, 0, v4
	s_andn2_b64 s[10:11], s[10:11], exec
	s_and_b64 s[14:15], vcc, exec
	v_mov_b32_e32 v42, 0
	s_or_b64 s[10:11], s[10:11], s[14:15]
	s_or_b64 exec, exec, s[12:13]
	s_and_saveexec_b64 s[12:13], s[10:11]
	s_cbranch_execnz .LBB16_1320
	s_branch .LBB16_1321
.LBB16_1338:
	s_mov_b64 s[8:9], -1
                                        ; implicit-def: $vgpr42
	s_branch .LBB16_1343
.LBB16_1339:
	s_mov_b64 s[8:9], -1
                                        ; implicit-def: $vgpr42
.LBB16_1340:
	s_and_b64 vcc, exec, s[8:9]
	s_cbranch_vccz .LBB16_1342
; %bb.1341:
	global_load_ubyte v4, v[2:3], off
	s_mov_b32 s8, 0x7f800000
	s_waitcnt vmcnt(0)
	v_lshlrev_b32_e32 v4, 24, v4
	v_and_b32_e32 v5, 0x7f000000, v4
	v_ffbh_u32_e32 v6, v5
	v_min_u32_e32 v6, 32, v6
	v_sub_u32_e64 v6, v6, 4 clamp
	v_lshlrev_b32_e32 v8, v6, v5
	v_lshlrev_b32_e32 v6, 23, v6
	v_lshrrev_b32_e32 v8, 4, v8
	v_add_u32_e32 v7, 0x1000000, v5
	v_sub_u32_e32 v6, v8, v6
	v_ashrrev_i32_e32 v7, 8, v7
	v_add_u32_e32 v6, 0x3c000000, v6
	v_and_or_b32 v6, v7, s8, v6
	v_cmp_ne_u32_e32 vcc, 0, v5
	v_cndmask_b32_e32 v5, 0, v6, vcc
	s_brev_b32 s8, 1
	v_and_or_b32 v42, v4, s8, v5
.LBB16_1342:
	s_mov_b64 s[8:9], 0
.LBB16_1343:
	s_andn2_b64 vcc, exec, s[8:9]
	s_cbranch_vccnz .LBB16_1345
; %bb.1344:
	global_load_ubyte v4, v[2:3], off
	s_movk_i32 s8, 0x7f00
	s_brev_b32 s9, 16
	s_waitcnt vmcnt(0)
	v_lshlrev_b16_e32 v5, 8, v4
	v_lshlrev_b32_e32 v4, 25, v4
	v_lshrrev_b32_e32 v6, 4, v4
	v_and_or_b32 v7, v5, s8, 0.5
	v_or_b32_e32 v6, 0x70000000, v6
	v_add_f32_e32 v7, -0.5, v7
	v_mul_f32_e32 v6, 0x7800000, v6
	v_cmp_gt_u32_e32 vcc, s9, v4
	v_bfe_i32 v5, v5, 0, 16
	v_cndmask_b32_e32 v4, v6, v7, vcc
	s_brev_b32 s8, 1
	v_and_or_b32 v42, v5, s8, v4
.LBB16_1345:
	s_mov_b64 s[8:9], 0
	s_mov_b64 s[10:11], -1
.LBB16_1346:
	s_andn2_b64 vcc, exec, s[8:9]
	s_mov_b64 s[8:9], 0
	s_cbranch_vccnz .LBB16_1357
; %bb.1347:
	v_cmp_lt_i16_e32 vcc, 14, v46
	s_cbranch_vccz .LBB16_1350
; %bb.1348:
	v_cmp_eq_u16_e32 vcc, 15, v46
	s_cbranch_vccz .LBB16_1353
; %bb.1349:
	global_load_ushort v4, v[2:3], off
	s_mov_b64 s[6:7], 0
	s_mov_b64 s[10:11], -1
	s_waitcnt vmcnt(0)
	v_lshlrev_b32_e32 v42, 16, v4
	s_branch .LBB16_1354
.LBB16_1350:
	s_mov_b64 s[12:13], -1
                                        ; implicit-def: $vgpr42
	s_branch .LBB16_1355
.LBB16_1351:
	s_or_saveexec_b64 s[10:11], s[10:11]
	v_mov_b32_e32 v42, s14
	s_xor_b64 exec, exec, s[10:11]
	s_cbranch_execz .LBB16_1332
.LBB16_1352:
	v_cmp_ne_u16_e32 vcc, 0, v4
	s_andn2_b64 s[8:9], s[8:9], exec
	s_and_b64 s[12:13], vcc, exec
	v_mov_b32_e32 v42, 0
	s_or_b64 s[8:9], s[8:9], s[12:13]
	s_or_b64 exec, exec, s[10:11]
	s_and_saveexec_b64 s[10:11], s[8:9]
	s_cbranch_execnz .LBB16_1333
	s_branch .LBB16_1334
.LBB16_1353:
	s_mov_b64 s[6:7], -1
                                        ; implicit-def: $vgpr42
.LBB16_1354:
	s_mov_b64 s[12:13], 0
.LBB16_1355:
	s_and_b64 vcc, exec, s[12:13]
	s_cbranch_vccz .LBB16_1357
; %bb.1356:
	v_cmp_ne_u16_e64 s[6:7], 11, v46
	s_mov_b64 s[8:9], -1
                                        ; implicit-def: $vgpr42
.LBB16_1357:
	s_and_b64 vcc, exec, s[6:7]
	s_cbranch_vccnz .LBB16_1420
; %bb.1358:
	s_andn2_b64 vcc, exec, s[8:9]
	s_cbranch_vccnz .LBB16_1360
.LBB16_1359:
	global_load_ubyte v4, v[2:3], off
	s_mov_b64 s[10:11], -1
	s_waitcnt vmcnt(0)
	v_cmp_ne_u16_e32 vcc, 0, v4
	v_cndmask_b32_e64 v42, 0, 1.0, vcc
.LBB16_1360:
	s_branch .LBB16_1288
.LBB16_1361:
	v_cmp_gt_i16_e32 vcc, 5, v46
	s_cbranch_vccnz .LBB16_1366
; %bb.1362:
	v_cmp_gt_i16_e32 vcc, 8, v46
	s_cbranch_vccnz .LBB16_1367
; %bb.1363:
	;; [unrolled: 3-line block ×3, first 2 shown]
	v_cmp_lt_i16_e32 vcc, 9, v46
	s_cbranch_vccz .LBB16_1369
; %bb.1365:
	global_load_dwordx2 v[4:5], v[2:3], off
	s_mov_b64 s[6:7], 0
	s_waitcnt vmcnt(0)
	v_cvt_f32_f64_e32 v42, v[4:5]
	s_branch .LBB16_1370
.LBB16_1366:
	s_mov_b64 s[6:7], -1
                                        ; implicit-def: $vgpr42
	s_branch .LBB16_1388
.LBB16_1367:
	s_mov_b64 s[6:7], -1
                                        ; implicit-def: $vgpr42
	s_branch .LBB16_1376
.LBB16_1368:
	s_mov_b64 s[6:7], -1
                                        ; implicit-def: $vgpr42
	s_branch .LBB16_1373
.LBB16_1369:
	s_mov_b64 s[6:7], -1
                                        ; implicit-def: $vgpr42
.LBB16_1370:
	s_andn2_b64 vcc, exec, s[6:7]
	s_cbranch_vccnz .LBB16_1372
; %bb.1371:
	global_load_dword v42, v[2:3], off
.LBB16_1372:
	s_mov_b64 s[6:7], 0
.LBB16_1373:
	s_andn2_b64 vcc, exec, s[6:7]
	s_cbranch_vccnz .LBB16_1375
; %bb.1374:
	global_load_dword v4, v[2:3], off
	s_waitcnt vmcnt(0)
	v_cvt_f32_f16_e32 v42, v4
.LBB16_1375:
	s_mov_b64 s[6:7], 0
.LBB16_1376:
	s_andn2_b64 vcc, exec, s[6:7]
	s_cbranch_vccnz .LBB16_1387
; %bb.1377:
	v_cmp_gt_i16_e32 vcc, 6, v46
	s_cbranch_vccnz .LBB16_1380
; %bb.1378:
	v_cmp_lt_i16_e32 vcc, 6, v46
	s_cbranch_vccz .LBB16_1381
; %bb.1379:
	global_load_dwordx2 v[4:5], v[2:3], off
	s_mov_b64 s[6:7], 0
	s_waitcnt vmcnt(0)
	v_cvt_f32_f64_e32 v42, v[4:5]
	s_branch .LBB16_1382
.LBB16_1380:
	s_mov_b64 s[6:7], -1
                                        ; implicit-def: $vgpr42
	s_branch .LBB16_1385
.LBB16_1381:
	s_mov_b64 s[6:7], -1
                                        ; implicit-def: $vgpr42
.LBB16_1382:
	s_andn2_b64 vcc, exec, s[6:7]
	s_cbranch_vccnz .LBB16_1384
; %bb.1383:
	global_load_dword v42, v[2:3], off
.LBB16_1384:
	s_mov_b64 s[6:7], 0
.LBB16_1385:
	s_andn2_b64 vcc, exec, s[6:7]
	s_cbranch_vccnz .LBB16_1387
; %bb.1386:
	global_load_ushort v4, v[2:3], off
	s_waitcnt vmcnt(0)
	v_cvt_f32_f16_e32 v42, v4
.LBB16_1387:
	s_mov_b64 s[6:7], 0
.LBB16_1388:
	s_andn2_b64 vcc, exec, s[6:7]
	s_cbranch_vccnz .LBB16_1408
; %bb.1389:
	v_cmp_gt_i16_e32 vcc, 2, v46
	s_cbranch_vccnz .LBB16_1393
; %bb.1390:
	v_cmp_gt_i16_e32 vcc, 3, v46
	s_cbranch_vccnz .LBB16_1394
; %bb.1391:
	v_cmp_lt_i16_e32 vcc, 3, v46
	s_cbranch_vccz .LBB16_1395
; %bb.1392:
	global_load_dwordx2 v[4:5], v[2:3], off
	s_mov_b64 s[6:7], 0
	s_waitcnt vmcnt(0)
	v_xor_b32_e32 v7, v4, v5
	v_ffbh_i32_e32 v6, v5
	v_ashrrev_i32_e32 v7, 31, v7
	v_add_u32_e32 v6, -1, v6
	v_add_u32_e32 v7, 32, v7
	v_min_u32_e32 v6, v6, v7
	v_lshlrev_b64 v[4:5], v6, v[4:5]
	v_min_u32_e32 v4, 1, v4
	v_or_b32_e32 v4, v5, v4
	v_cvt_f32_i32_e32 v4, v4
	v_sub_u32_e32 v5, 32, v6
	v_ldexp_f32 v42, v4, v5
	s_branch .LBB16_1396
.LBB16_1393:
	s_mov_b64 s[6:7], -1
                                        ; implicit-def: $vgpr42
	s_branch .LBB16_1402
.LBB16_1394:
	s_mov_b64 s[6:7], -1
                                        ; implicit-def: $vgpr42
	s_branch .LBB16_1399
.LBB16_1395:
	s_mov_b64 s[6:7], -1
                                        ; implicit-def: $vgpr42
.LBB16_1396:
	s_andn2_b64 vcc, exec, s[6:7]
	s_cbranch_vccnz .LBB16_1398
; %bb.1397:
	global_load_dword v4, v[2:3], off
	s_waitcnt vmcnt(0)
	v_cvt_f32_i32_e32 v42, v4
.LBB16_1398:
	s_mov_b64 s[6:7], 0
.LBB16_1399:
	s_andn2_b64 vcc, exec, s[6:7]
	s_cbranch_vccnz .LBB16_1401
; %bb.1400:
	global_load_sshort v4, v[2:3], off
	s_waitcnt vmcnt(0)
	v_cvt_f32_i32_e32 v42, v4
.LBB16_1401:
	s_mov_b64 s[6:7], 0
.LBB16_1402:
	s_andn2_b64 vcc, exec, s[6:7]
	s_cbranch_vccnz .LBB16_1408
; %bb.1403:
	v_cmp_lt_i16_e32 vcc, 0, v46
	s_cbranch_vccz .LBB16_1405
; %bb.1404:
	global_load_sbyte v4, v[2:3], off
	s_mov_b64 s[6:7], 0
	s_waitcnt vmcnt(0)
	v_cvt_f32_i32_e32 v42, v4
	s_branch .LBB16_1406
.LBB16_1405:
	s_mov_b64 s[6:7], -1
                                        ; implicit-def: $vgpr42
.LBB16_1406:
	s_andn2_b64 vcc, exec, s[6:7]
	s_cbranch_vccnz .LBB16_1408
; %bb.1407:
	global_load_ubyte v2, v[2:3], off
	s_waitcnt vmcnt(0)
	v_cvt_f32_ubyte0_e32 v42, v2
.LBB16_1408:
.LBB16_1409:
	v_add_u32_e32 v1, s16, v1
	v_ashrrev_i32_e32 v3, 31, v1
	v_mov_b32_e32 v4, s39
	v_add_co_u32_e32 v2, vcc, s38, v1
	v_addc_co_u32_e32 v3, vcc, v4, v3, vcc
	s_and_b64 vcc, exec, s[4:5]
	s_cbranch_vccnz .LBB16_1416
; %bb.1410:
	v_cmp_lt_i16_e32 vcc, 25, v46
	s_mov_b64 s[6:7], 0
	s_cbranch_vccz .LBB16_1417
; %bb.1411:
	v_cmp_lt_i16_e32 vcc, 28, v46
	s_cbranch_vccz .LBB16_1418
; %bb.1412:
	v_cmp_lt_i16_e32 vcc, 43, v46
	;; [unrolled: 3-line block ×3, first 2 shown]
	s_cbranch_vccz .LBB16_1421
; %bb.1414:
	v_cmp_eq_u16_e32 vcc, 46, v46
	s_mov_b64 s[10:11], 0
	s_cbranch_vccz .LBB16_1422
; %bb.1415:
	global_load_dword v1, v[2:3], off
	s_mov_b64 s[4:5], 0
	s_mov_b64 s[8:9], -1
	s_waitcnt vmcnt(0)
	v_lshlrev_b32_e32 v43, 16, v1
	s_branch .LBB16_1423
.LBB16_1416:
	s_mov_b64 s[4:5], -1
	s_mov_b64 s[8:9], 0
                                        ; implicit-def: $vgpr43
	s_branch .LBB16_1489
.LBB16_1417:
	s_mov_b64 s[10:11], -1
	s_mov_b64 s[8:9], 0
	s_mov_b64 s[4:5], 0
                                        ; implicit-def: $vgpr43
	s_branch .LBB16_1452
.LBB16_1418:
	s_mov_b64 s[10:11], -1
	s_mov_b64 s[8:9], 0
	s_mov_b64 s[4:5], 0
                                        ; implicit-def: $vgpr43
	s_branch .LBB16_1433
.LBB16_1419:
	s_mov_b64 s[10:11], -1
	s_mov_b64 s[8:9], 0
	s_mov_b64 s[4:5], 0
                                        ; implicit-def: $vgpr43
	s_branch .LBB16_1428
.LBB16_1420:
	s_trap 2
	s_or_b64 s[48:49], s[48:49], exec
                                        ; implicit-def: $vgpr42
	s_cbranch_execz .LBB16_1359
	s_branch .LBB16_1360
.LBB16_1421:
	s_mov_b64 s[10:11], -1
	s_mov_b64 s[8:9], 0
	s_mov_b64 s[4:5], 0
                                        ; implicit-def: $vgpr43
	s_branch .LBB16_1423
.LBB16_1422:
	s_mov_b64 s[4:5], -1
                                        ; implicit-def: $vgpr43
	s_mov_b64 s[8:9], 0
.LBB16_1423:
	s_and_b64 vcc, exec, s[10:11]
	s_cbranch_vccz .LBB16_1427
; %bb.1424:
	v_cmp_eq_u16_e32 vcc, 44, v46
	s_cbranch_vccz .LBB16_1426
; %bb.1425:
	global_load_ubyte v1, v[2:3], off
	s_movk_i32 s8, 0xff
	v_mov_b32_e32 v4, 0x7f800001
	v_mov_b32_e32 v5, 0x400000
	s_mov_b64 s[4:5], 0
	s_waitcnt vmcnt(0)
	v_lshlrev_b32_e32 v6, 23, v1
	v_cmp_ne_u32_e32 vcc, s8, v1
	v_cndmask_b32_e32 v4, v4, v6, vcc
	v_cmp_ne_u32_e32 vcc, 0, v1
	v_cndmask_b32_e32 v43, v5, v4, vcc
	s_mov_b64 s[8:9], -1
	s_branch .LBB16_1427
.LBB16_1426:
	s_mov_b64 s[4:5], -1
                                        ; implicit-def: $vgpr43
.LBB16_1427:
	s_mov_b64 s[10:11], 0
.LBB16_1428:
	s_and_b64 vcc, exec, s[10:11]
	s_cbranch_vccz .LBB16_1432
; %bb.1429:
	v_cmp_eq_u16_e32 vcc, 29, v46
	s_cbranch_vccz .LBB16_1431
; %bb.1430:
	global_load_dwordx2 v[4:5], v[2:3], off
	s_mov_b64 s[4:5], 0
	s_mov_b64 s[8:9], -1
	s_mov_b64 s[10:11], 0
	s_waitcnt vmcnt(0)
	v_ffbh_u32_e32 v1, v5
	v_min_u32_e32 v1, 32, v1
	v_lshlrev_b64 v[4:5], v1, v[4:5]
	v_min_u32_e32 v4, 1, v4
	v_or_b32_e32 v4, v5, v4
	v_cvt_f32_u32_e32 v4, v4
	v_sub_u32_e32 v1, 32, v1
	v_ldexp_f32 v43, v4, v1
	s_branch .LBB16_1433
.LBB16_1431:
	s_mov_b64 s[4:5], -1
                                        ; implicit-def: $vgpr43
.LBB16_1432:
	s_mov_b64 s[10:11], 0
.LBB16_1433:
	s_and_b64 vcc, exec, s[10:11]
	s_cbranch_vccz .LBB16_1451
; %bb.1434:
	v_cmp_gt_i16_e32 vcc, 27, v46
	s_cbranch_vccnz .LBB16_1437
; %bb.1435:
	v_cmp_lt_i16_e32 vcc, 27, v46
	s_cbranch_vccz .LBB16_1438
; %bb.1436:
	global_load_dword v1, v[2:3], off
	s_mov_b64 s[8:9], 0
	s_waitcnt vmcnt(0)
	v_cvt_f32_u32_e32 v43, v1
	s_branch .LBB16_1439
.LBB16_1437:
	s_mov_b64 s[8:9], -1
                                        ; implicit-def: $vgpr43
	s_branch .LBB16_1442
.LBB16_1438:
	s_mov_b64 s[8:9], -1
                                        ; implicit-def: $vgpr43
.LBB16_1439:
	s_andn2_b64 vcc, exec, s[8:9]
	s_cbranch_vccnz .LBB16_1441
; %bb.1440:
	global_load_ushort v1, v[2:3], off
	s_waitcnt vmcnt(0)
	v_cvt_f32_u32_e32 v43, v1
.LBB16_1441:
	s_mov_b64 s[8:9], 0
.LBB16_1442:
	s_andn2_b64 vcc, exec, s[8:9]
	s_cbranch_vccnz .LBB16_1450
; %bb.1443:
	global_load_ubyte v1, v[2:3], off
	s_movk_i32 s8, 0x7f
                                        ; implicit-def: $sgpr14
	s_waitcnt vmcnt(0)
	v_cmp_lt_i16_e32 vcc, s8, v1
	s_mov_b64 s[8:9], 0
	s_and_saveexec_b64 s[10:11], vcc
	s_xor_b64 s[10:11], exec, s[10:11]
	s_cbranch_execz .LBB16_1464
; %bb.1444:
	s_movk_i32 s8, 0x80
	v_cmp_eq_u16_e32 vcc, s8, v1
	s_mov_b64 s[8:9], -1
                                        ; implicit-def: $sgpr14
	s_and_saveexec_b64 s[12:13], vcc
; %bb.1445:
	s_mov_b32 s14, 0x7f800001
	s_xor_b64 s[8:9], exec, -1
; %bb.1446:
	s_or_b64 exec, exec, s[12:13]
	s_and_b64 s[8:9], s[8:9], exec
	s_or_saveexec_b64 s[10:11], s[10:11]
	v_mov_b32_e32 v43, s14
	s_xor_b64 exec, exec, s[10:11]
	s_cbranch_execnz .LBB16_1465
.LBB16_1447:
	s_or_b64 exec, exec, s[10:11]
	s_and_saveexec_b64 s[10:11], s[8:9]
	s_cbranch_execz .LBB16_1449
.LBB16_1448:
	v_lshlrev_b32_e32 v4, 24, v1
	v_and_b32_e32 v1, 0xffff, v1
	v_and_b32_e32 v5, 7, v1
	v_ffbh_u32_e32 v7, v5
	v_min_u32_e32 v7, 32, v7
	v_subrev_u32_e32 v8, 28, v7
	v_bfe_u32 v6, v1, 3, 4
	v_lshlrev_b32_e32 v1, v8, v1
	v_sub_u32_e32 v7, 29, v7
	v_and_b32_e32 v1, 7, v1
	v_cmp_eq_u32_e32 vcc, 0, v6
	v_cndmask_b32_e32 v6, v6, v7, vcc
	v_cndmask_b32_e32 v1, v5, v1, vcc
	v_mov_b32_e32 v5, 0x3b800000
	v_lshlrev_b32_e32 v1, 20, v1
	v_and_b32_e32 v4, 0x80000000, v4
	v_lshl_add_u32 v5, v6, 23, v5
	v_or3_b32 v43, v4, v5, v1
.LBB16_1449:
	s_or_b64 exec, exec, s[10:11]
.LBB16_1450:
	s_mov_b64 s[8:9], -1
.LBB16_1451:
	s_mov_b64 s[10:11], 0
.LBB16_1452:
	s_and_b64 vcc, exec, s[10:11]
	s_cbranch_vccz .LBB16_1485
; %bb.1453:
	v_cmp_lt_i16_e32 vcc, 22, v46
	s_cbranch_vccz .LBB16_1463
; %bb.1454:
	v_cmp_gt_i16_e32 vcc, 24, v46
	s_cbranch_vccnz .LBB16_1466
; %bb.1455:
	v_cmp_lt_i16_e32 vcc, 24, v46
	s_cbranch_vccz .LBB16_1467
; %bb.1456:
	global_load_ubyte v1, v[2:3], off
	s_movk_i32 s6, 0x7f
                                        ; implicit-def: $sgpr12
	s_waitcnt vmcnt(0)
	v_cmp_lt_i16_e32 vcc, s6, v1
	s_mov_b64 s[6:7], 0
	s_and_saveexec_b64 s[8:9], vcc
	s_xor_b64 s[8:9], exec, s[8:9]
	s_cbranch_execz .LBB16_1479
; %bb.1457:
	s_movk_i32 s6, 0x80
	v_cmp_eq_u16_e32 vcc, s6, v1
	s_mov_b64 s[6:7], -1
                                        ; implicit-def: $sgpr12
	s_and_saveexec_b64 s[10:11], vcc
; %bb.1458:
	s_mov_b32 s12, 0x7f800001
	s_xor_b64 s[6:7], exec, -1
; %bb.1459:
	s_or_b64 exec, exec, s[10:11]
	s_and_b64 s[6:7], s[6:7], exec
	s_or_saveexec_b64 s[8:9], s[8:9]
	v_mov_b32_e32 v43, s12
	s_xor_b64 exec, exec, s[8:9]
	s_cbranch_execnz .LBB16_1480
.LBB16_1460:
	s_or_b64 exec, exec, s[8:9]
	s_and_saveexec_b64 s[8:9], s[6:7]
	s_cbranch_execz .LBB16_1462
.LBB16_1461:
	v_lshlrev_b32_e32 v4, 24, v1
	v_and_b32_e32 v1, 0xffff, v1
	v_and_b32_e32 v5, 3, v1
	v_ffbh_u32_e32 v7, v5
	v_min_u32_e32 v7, 32, v7
	v_subrev_u32_e32 v8, 29, v7
	v_bfe_u32 v6, v1, 2, 5
	v_lshlrev_b32_e32 v1, v8, v1
	v_sub_u32_e32 v7, 30, v7
	v_and_b32_e32 v1, 3, v1
	v_cmp_eq_u32_e32 vcc, 0, v6
	v_cndmask_b32_e32 v6, v6, v7, vcc
	v_cndmask_b32_e32 v1, v5, v1, vcc
	v_mov_b32_e32 v5, 0x37800000
	v_lshlrev_b32_e32 v1, 21, v1
	v_and_b32_e32 v4, 0x80000000, v4
	v_lshl_add_u32 v5, v6, 23, v5
	v_or3_b32 v43, v4, v5, v1
.LBB16_1462:
	s_or_b64 exec, exec, s[8:9]
	s_mov_b64 s[6:7], 0
	s_branch .LBB16_1468
.LBB16_1463:
	s_mov_b64 s[6:7], -1
                                        ; implicit-def: $vgpr43
	s_branch .LBB16_1474
.LBB16_1464:
	s_or_saveexec_b64 s[10:11], s[10:11]
	v_mov_b32_e32 v43, s14
	s_xor_b64 exec, exec, s[10:11]
	s_cbranch_execz .LBB16_1447
.LBB16_1465:
	v_cmp_ne_u16_e32 vcc, 0, v1
	s_andn2_b64 s[8:9], s[8:9], exec
	s_and_b64 s[12:13], vcc, exec
	v_mov_b32_e32 v43, 0
	s_or_b64 s[8:9], s[8:9], s[12:13]
	s_or_b64 exec, exec, s[10:11]
	s_and_saveexec_b64 s[10:11], s[8:9]
	s_cbranch_execnz .LBB16_1448
	s_branch .LBB16_1449
.LBB16_1466:
	s_mov_b64 s[6:7], -1
                                        ; implicit-def: $vgpr43
	s_branch .LBB16_1471
.LBB16_1467:
	s_mov_b64 s[6:7], -1
                                        ; implicit-def: $vgpr43
.LBB16_1468:
	s_and_b64 vcc, exec, s[6:7]
	s_cbranch_vccz .LBB16_1470
; %bb.1469:
	global_load_ubyte v1, v[2:3], off
	s_mov_b32 s6, 0x7f800000
	s_waitcnt vmcnt(0)
	v_lshlrev_b32_e32 v1, 24, v1
	v_and_b32_e32 v4, 0x7f000000, v1
	v_ffbh_u32_e32 v5, v4
	v_min_u32_e32 v5, 32, v5
	v_sub_u32_e64 v5, v5, 4 clamp
	v_lshlrev_b32_e32 v7, v5, v4
	v_lshlrev_b32_e32 v5, 23, v5
	v_lshrrev_b32_e32 v7, 4, v7
	v_add_u32_e32 v6, 0x1000000, v4
	v_sub_u32_e32 v5, v7, v5
	v_ashrrev_i32_e32 v6, 8, v6
	v_add_u32_e32 v5, 0x3c000000, v5
	v_and_or_b32 v5, v6, s6, v5
	v_cmp_ne_u32_e32 vcc, 0, v4
	v_cndmask_b32_e32 v4, 0, v5, vcc
	s_brev_b32 s6, 1
	v_and_or_b32 v43, v1, s6, v4
.LBB16_1470:
	s_mov_b64 s[6:7], 0
.LBB16_1471:
	s_andn2_b64 vcc, exec, s[6:7]
	s_cbranch_vccnz .LBB16_1473
; %bb.1472:
	global_load_ubyte v1, v[2:3], off
	s_movk_i32 s6, 0x7f00
	s_brev_b32 s7, 16
	s_waitcnt vmcnt(0)
	v_lshlrev_b16_e32 v4, 8, v1
	v_lshlrev_b32_e32 v1, 25, v1
	v_lshrrev_b32_e32 v5, 4, v1
	v_and_or_b32 v6, v4, s6, 0.5
	v_or_b32_e32 v5, 0x70000000, v5
	v_add_f32_e32 v6, -0.5, v6
	v_mul_f32_e32 v5, 0x7800000, v5
	v_cmp_gt_u32_e32 vcc, s7, v1
	v_bfe_i32 v4, v4, 0, 16
	v_cndmask_b32_e32 v1, v5, v6, vcc
	s_brev_b32 s6, 1
	v_and_or_b32 v43, v4, s6, v1
.LBB16_1473:
	s_mov_b64 s[6:7], 0
	s_mov_b64 s[8:9], -1
.LBB16_1474:
	s_andn2_b64 vcc, exec, s[6:7]
	s_mov_b64 s[6:7], 0
	s_cbranch_vccnz .LBB16_1485
; %bb.1475:
	v_cmp_lt_i16_e32 vcc, 14, v46
	s_cbranch_vccz .LBB16_1478
; %bb.1476:
	v_cmp_eq_u16_e32 vcc, 15, v46
	s_cbranch_vccz .LBB16_1481
; %bb.1477:
	global_load_ushort v1, v[2:3], off
	s_mov_b64 s[4:5], 0
	s_mov_b64 s[8:9], -1
	s_waitcnt vmcnt(0)
	v_lshlrev_b32_e32 v43, 16, v1
	s_branch .LBB16_1482
.LBB16_1478:
	s_mov_b64 s[10:11], -1
                                        ; implicit-def: $vgpr43
	s_branch .LBB16_1483
.LBB16_1479:
	s_or_saveexec_b64 s[8:9], s[8:9]
	v_mov_b32_e32 v43, s12
	s_xor_b64 exec, exec, s[8:9]
	s_cbranch_execz .LBB16_1460
.LBB16_1480:
	v_cmp_ne_u16_e32 vcc, 0, v1
	s_andn2_b64 s[6:7], s[6:7], exec
	s_and_b64 s[10:11], vcc, exec
	v_mov_b32_e32 v43, 0
	s_or_b64 s[6:7], s[6:7], s[10:11]
	s_or_b64 exec, exec, s[8:9]
	s_and_saveexec_b64 s[8:9], s[6:7]
	s_cbranch_execnz .LBB16_1461
	s_branch .LBB16_1462
.LBB16_1481:
	s_mov_b64 s[4:5], -1
                                        ; implicit-def: $vgpr43
.LBB16_1482:
	s_mov_b64 s[10:11], 0
.LBB16_1483:
	s_and_b64 vcc, exec, s[10:11]
	s_cbranch_vccz .LBB16_1485
; %bb.1484:
	v_cmp_ne_u16_e64 s[4:5], 11, v46
	s_mov_b64 s[6:7], -1
                                        ; implicit-def: $vgpr43
.LBB16_1485:
	s_and_b64 vcc, exec, s[4:5]
	s_cbranch_vccnz .LBB16_1549
; %bb.1486:
	s_andn2_b64 vcc, exec, s[6:7]
	s_cbranch_vccnz .LBB16_1488
.LBB16_1487:
	global_load_ubyte v1, v[2:3], off
	s_mov_b64 s[8:9], -1
	s_waitcnt vmcnt(0)
	v_cmp_ne_u16_e32 vcc, 0, v1
	v_cndmask_b32_e64 v43, 0, 1.0, vcc
.LBB16_1488:
	s_mov_b64 s[4:5], 0
.LBB16_1489:
	s_and_b64 vcc, exec, s[4:5]
	s_cbranch_vccz .LBB16_1538
; %bb.1490:
	v_cmp_gt_i16_e32 vcc, 5, v46
	s_cbranch_vccnz .LBB16_1495
; %bb.1491:
	v_cmp_gt_i16_e32 vcc, 8, v46
	s_cbranch_vccnz .LBB16_1496
	;; [unrolled: 3-line block ×3, first 2 shown]
; %bb.1493:
	v_cmp_lt_i16_e32 vcc, 9, v46
	s_cbranch_vccz .LBB16_1498
; %bb.1494:
	global_load_dwordx2 v[4:5], v[2:3], off
	s_mov_b64 s[4:5], 0
	s_waitcnt vmcnt(0)
	v_cvt_f32_f64_e32 v43, v[4:5]
	s_branch .LBB16_1499
.LBB16_1495:
	s_mov_b64 s[4:5], -1
                                        ; implicit-def: $vgpr43
	s_branch .LBB16_1517
.LBB16_1496:
	s_mov_b64 s[4:5], -1
                                        ; implicit-def: $vgpr43
	s_branch .LBB16_1505
.LBB16_1497:
	s_mov_b64 s[4:5], -1
                                        ; implicit-def: $vgpr43
	s_branch .LBB16_1502
.LBB16_1498:
	s_mov_b64 s[4:5], -1
                                        ; implicit-def: $vgpr43
.LBB16_1499:
	s_andn2_b64 vcc, exec, s[4:5]
	s_cbranch_vccnz .LBB16_1501
; %bb.1500:
	global_load_dword v43, v[2:3], off
.LBB16_1501:
	s_mov_b64 s[4:5], 0
.LBB16_1502:
	s_andn2_b64 vcc, exec, s[4:5]
	s_cbranch_vccnz .LBB16_1504
; %bb.1503:
	global_load_dword v1, v[2:3], off
	s_waitcnt vmcnt(0)
	v_cvt_f32_f16_e32 v43, v1
.LBB16_1504:
	s_mov_b64 s[4:5], 0
.LBB16_1505:
	s_andn2_b64 vcc, exec, s[4:5]
	s_cbranch_vccnz .LBB16_1516
; %bb.1506:
	v_cmp_gt_i16_e32 vcc, 6, v46
	s_cbranch_vccnz .LBB16_1509
; %bb.1507:
	v_cmp_lt_i16_e32 vcc, 6, v46
	s_cbranch_vccz .LBB16_1510
; %bb.1508:
	global_load_dwordx2 v[4:5], v[2:3], off
	s_mov_b64 s[4:5], 0
	s_waitcnt vmcnt(0)
	v_cvt_f32_f64_e32 v43, v[4:5]
	s_branch .LBB16_1511
.LBB16_1509:
	s_mov_b64 s[4:5], -1
                                        ; implicit-def: $vgpr43
	s_branch .LBB16_1514
.LBB16_1510:
	s_mov_b64 s[4:5], -1
                                        ; implicit-def: $vgpr43
.LBB16_1511:
	s_andn2_b64 vcc, exec, s[4:5]
	s_cbranch_vccnz .LBB16_1513
; %bb.1512:
	global_load_dword v43, v[2:3], off
.LBB16_1513:
	s_mov_b64 s[4:5], 0
.LBB16_1514:
	s_andn2_b64 vcc, exec, s[4:5]
	s_cbranch_vccnz .LBB16_1516
; %bb.1515:
	global_load_ushort v1, v[2:3], off
	s_waitcnt vmcnt(0)
	v_cvt_f32_f16_e32 v43, v1
.LBB16_1516:
	s_mov_b64 s[4:5], 0
.LBB16_1517:
	s_andn2_b64 vcc, exec, s[4:5]
	s_cbranch_vccnz .LBB16_1537
; %bb.1518:
	v_cmp_gt_i16_e32 vcc, 2, v46
	s_cbranch_vccnz .LBB16_1522
; %bb.1519:
	v_cmp_gt_i16_e32 vcc, 3, v46
	s_cbranch_vccnz .LBB16_1523
; %bb.1520:
	v_cmp_lt_i16_e32 vcc, 3, v46
	s_cbranch_vccz .LBB16_1524
; %bb.1521:
	global_load_dwordx2 v[4:5], v[2:3], off
	s_mov_b64 s[4:5], 0
	s_waitcnt vmcnt(0)
	v_xor_b32_e32 v6, v4, v5
	v_ffbh_i32_e32 v1, v5
	v_ashrrev_i32_e32 v6, 31, v6
	v_add_u32_e32 v1, -1, v1
	v_add_u32_e32 v6, 32, v6
	v_min_u32_e32 v1, v1, v6
	v_lshlrev_b64 v[4:5], v1, v[4:5]
	v_min_u32_e32 v4, 1, v4
	v_or_b32_e32 v4, v5, v4
	v_cvt_f32_i32_e32 v4, v4
	v_sub_u32_e32 v1, 32, v1
	v_ldexp_f32 v43, v4, v1
	s_branch .LBB16_1525
.LBB16_1522:
	s_mov_b64 s[4:5], -1
                                        ; implicit-def: $vgpr43
	s_branch .LBB16_1531
.LBB16_1523:
	s_mov_b64 s[4:5], -1
                                        ; implicit-def: $vgpr43
	s_branch .LBB16_1528
.LBB16_1524:
	s_mov_b64 s[4:5], -1
                                        ; implicit-def: $vgpr43
.LBB16_1525:
	s_andn2_b64 vcc, exec, s[4:5]
	s_cbranch_vccnz .LBB16_1527
; %bb.1526:
	global_load_dword v1, v[2:3], off
	s_waitcnt vmcnt(0)
	v_cvt_f32_i32_e32 v43, v1
.LBB16_1527:
	s_mov_b64 s[4:5], 0
.LBB16_1528:
	s_andn2_b64 vcc, exec, s[4:5]
	s_cbranch_vccnz .LBB16_1530
; %bb.1529:
	global_load_sshort v1, v[2:3], off
	s_waitcnt vmcnt(0)
	v_cvt_f32_i32_e32 v43, v1
.LBB16_1530:
	s_mov_b64 s[4:5], 0
.LBB16_1531:
	s_andn2_b64 vcc, exec, s[4:5]
	s_cbranch_vccnz .LBB16_1537
; %bb.1532:
	v_cmp_lt_i16_e32 vcc, 0, v46
	s_cbranch_vccz .LBB16_1534
; %bb.1533:
	global_load_sbyte v1, v[2:3], off
	s_mov_b64 s[4:5], 0
	s_waitcnt vmcnt(0)
	v_cvt_f32_i32_e32 v43, v1
	s_branch .LBB16_1535
.LBB16_1534:
	s_mov_b64 s[4:5], -1
                                        ; implicit-def: $vgpr43
.LBB16_1535:
	s_andn2_b64 vcc, exec, s[4:5]
	s_cbranch_vccnz .LBB16_1537
; %bb.1536:
	global_load_ubyte v1, v[2:3], off
	s_waitcnt vmcnt(0)
	v_cvt_f32_ubyte0_e32 v43, v1
.LBB16_1537:
	s_mov_b64 s[8:9], -1
.LBB16_1538:
	s_andn2_b64 vcc, exec, s[8:9]
	s_cbranch_vccnz .LBB16_1992
; %bb.1539:
	s_getpc_b64 s[4:5]
	s_add_u32 s4, s4, _Z17bessel_j1_forwardIfET_S0_@rel32@lo+4
	s_addc_u32 s5, s5, _Z17bessel_j1_forwardIfET_S0_@rel32@hi+12
	s_swappc_b64 s[30:31], s[4:5]
	v_mul_lo_u32 v45, s40, v45
	v_ashrrev_i32_e32 v1, 31, v45
	v_mov_b32_e32 v3, s37
	v_add_co_u32_e32 v2, vcc, s36, v45
	v_addc_co_u32_e32 v3, vcc, v3, v1, vcc
	v_mov_b32_e32 v1, 11
	v_cmp_lt_i16_sdwa s[4:5], v44, v1 src0_sel:BYTE_0 src1_sel:DWORD
	s_and_b64 vcc, exec, s[4:5]
	s_cbranch_vccnz .LBB16_1546
; %bb.1540:
	v_mov_b32_e32 v1, 25
	v_cmp_gt_i16_sdwa s[4:5], v44, v1 src0_sel:BYTE_0 src1_sel:DWORD
	s_mov_b64 s[10:11], -1
	s_mov_b64 s[6:7], 0
	s_and_b64 vcc, exec, s[4:5]
	s_mov_b64 s[8:9], 0
	s_mov_b64 s[4:5], 0
	s_cbranch_vccz .LBB16_1578
; %bb.1541:
	v_mov_b32_e32 v1, 28
	v_cmp_gt_i16_sdwa s[4:5], v44, v1 src0_sel:BYTE_0 src1_sel:DWORD
	s_and_b64 vcc, exec, s[4:5]
	s_cbranch_vccz .LBB16_1547
; %bb.1542:
	v_mov_b32_e32 v1, 43
	v_cmp_gt_i16_sdwa s[4:5], v44, v1 src0_sel:BYTE_0 src1_sel:DWORD
	s_and_b64 vcc, exec, s[4:5]
	s_cbranch_vccz .LBB16_1548
; %bb.1543:
	v_mov_b32_e32 v1, 45
	v_cmp_gt_i16_sdwa s[4:5], v44, v1 src0_sel:BYTE_0 src1_sel:DWORD
	s_and_b64 vcc, exec, s[4:5]
	s_cbranch_vccz .LBB16_1550
; %bb.1544:
	v_mov_b32_e32 v1, 46
	v_cmp_eq_u16_sdwa s[8:9], v44, v1 src0_sel:BYTE_0 src1_sel:DWORD
	s_mov_b64 s[4:5], -1
	s_mov_b64 s[10:11], 0
	s_and_b64 vcc, exec, s[8:9]
	s_mov_b64 s[8:9], 0
	s_cbranch_vccz .LBB16_1551
; %bb.1545:
	v_bfe_u32 v1, v0, 16, 1
	s_movk_i32 s4, 0x7fff
	v_add3_u32 v1, v0, v1, s4
	v_lshrrev_b32_e32 v1, 16, v1
	v_mov_b32_e32 v4, 0x7fc0
	v_cmp_o_f32_e32 vcc, v0, v0
	v_cndmask_b32_e32 v1, v4, v1, vcc
	global_store_dword v[2:3], v1, off
	s_mov_b64 s[4:5], 0
	s_mov_b64 s[8:9], -1
	s_branch .LBB16_1551
.LBB16_1546:
	s_mov_b64 s[4:5], -1
	s_mov_b64 s[8:9], 0
	s_branch .LBB16_1622
.LBB16_1547:
	s_mov_b64 s[4:5], 0
	s_branch .LBB16_1561
.LBB16_1548:
	s_mov_b64 s[4:5], 0
	s_branch .LBB16_1557
.LBB16_1549:
	s_trap 2
	s_or_b64 s[48:49], s[48:49], exec
                                        ; implicit-def: $vgpr43
	s_cbranch_execz .LBB16_1487
	s_branch .LBB16_1488
.LBB16_1550:
	s_mov_b64 s[4:5], 0
.LBB16_1551:
	s_and_b64 vcc, exec, s[10:11]
	s_cbranch_vccz .LBB16_1556
; %bb.1552:
	v_mov_b32_e32 v1, 44
	v_cmp_eq_u16_sdwa s[10:11], v44, v1 src0_sel:BYTE_0 src1_sel:DWORD
	s_mov_b64 s[4:5], -1
	s_and_b64 vcc, exec, s[10:11]
	s_cbranch_vccz .LBB16_1556
; %bb.1553:
	v_bfe_u32 v1, v0, 23, 8
	s_movk_i32 s4, 0xff
	v_cmp_ne_u32_e32 vcc, s4, v1
	v_mov_b32_e32 v4, 0xff
	s_and_saveexec_b64 s[8:9], vcc
; %bb.1554:
	s_mov_b32 s4, 0x3fffff
	v_and_b32_e32 v5, 0x400000, v0
	v_and_or_b32 v1, v0, s4, v1
	v_cmp_ne_u32_e32 vcc, 0, v5
	v_cmp_ne_u32_e64 s[4:5], 0, v1
	s_and_b64 s[4:5], vcc, s[4:5]
	v_lshrrev_b32_e32 v4, 23, v0
	v_cndmask_b32_e64 v1, 0, 1, s[4:5]
	v_add_u32_e32 v4, v4, v1
; %bb.1555:
	s_or_b64 exec, exec, s[8:9]
	s_mov_b64 s[4:5], 0
	s_mov_b64 s[8:9], -1
	global_store_byte v[2:3], v4, off
.LBB16_1556:
	s_mov_b64 s[10:11], 0
.LBB16_1557:
	s_and_b64 vcc, exec, s[10:11]
	s_cbranch_vccz .LBB16_1560
; %bb.1558:
	v_mov_b32_e32 v1, 29
	v_cmp_eq_u16_sdwa s[10:11], v44, v1 src0_sel:BYTE_0 src1_sel:DWORD
	s_mov_b64 s[4:5], -1
	s_and_b64 vcc, exec, s[10:11]
	s_cbranch_vccz .LBB16_1560
; %bb.1559:
	v_trunc_f32_e32 v1, v0
	v_mul_f32_e32 v4, 0x2f800000, v1
	v_floor_f32_e32 v4, v4
	v_fmac_f32_e32 v1, 0xcf800000, v4
	v_cvt_u32_f32_e32 v5, v4
	v_cvt_u32_f32_e32 v4, v1
	s_mov_b64 s[4:5], 0
	s_mov_b64 s[8:9], -1
	s_mov_b64 s[10:11], 0
	global_store_dwordx2 v[2:3], v[4:5], off
	s_branch .LBB16_1561
.LBB16_1560:
	s_mov_b64 s[10:11], 0
.LBB16_1561:
	s_and_b64 vcc, exec, s[10:11]
	s_cbranch_vccz .LBB16_1577
; %bb.1562:
	v_mov_b32_e32 v1, 27
	v_cmp_lt_i16_sdwa s[10:11], v44, v1 src0_sel:BYTE_0 src1_sel:DWORD
	s_mov_b64 s[8:9], -1
	s_and_b64 vcc, exec, s[10:11]
	s_cbranch_vccnz .LBB16_1568
; %bb.1563:
	v_cmp_gt_i16_sdwa s[10:11], v44, v1 src0_sel:BYTE_0 src1_sel:DWORD
	v_cvt_u32_f32_e32 v1, v0
	s_and_b64 vcc, exec, s[10:11]
	s_cbranch_vccz .LBB16_1565
; %bb.1564:
	s_mov_b64 s[8:9], 0
	global_store_dword v[2:3], v1, off
.LBB16_1565:
	s_andn2_b64 vcc, exec, s[8:9]
	s_cbranch_vccnz .LBB16_1567
; %bb.1566:
	global_store_short v[2:3], v1, off
.LBB16_1567:
	s_mov_b64 s[8:9], 0
.LBB16_1568:
	s_andn2_b64 vcc, exec, s[8:9]
	s_cbranch_vccnz .LBB16_1576
; %bb.1569:
	v_and_b32_e32 v1, 0x7fffffff, v0
	s_mov_b32 s8, 0x43800000
	v_cmp_gt_u32_e32 vcc, s8, v1
	v_mov_b32_e32 v4, 0x80
	s_and_saveexec_b64 s[8:9], vcc
	s_cbranch_execz .LBB16_1575
; %bb.1570:
	s_mov_b32 s10, 0x3bffffff
	v_cmp_lt_u32_e32 vcc, s10, v1
	s_mov_b64 s[10:11], 0
                                        ; implicit-def: $vgpr1
	s_and_saveexec_b64 s[12:13], vcc
	s_xor_b64 s[12:13], exec, s[12:13]
	s_cbranch_execz .LBB16_1671
; %bb.1571:
	v_bfe_u32 v1, v0, 20, 1
	s_mov_b32 s14, 0x487ffff
	v_add3_u32 v1, v0, v1, s14
	s_mov_b64 s[10:11], exec
	v_lshrrev_b32_e32 v1, 20, v1
	s_or_saveexec_b64 s[12:13], s[12:13]
                                        ; implicit-def: $sgpr14
	s_xor_b64 exec, exec, s[12:13]
	s_cbranch_execnz .LBB16_1672
.LBB16_1572:
	s_or_b64 exec, exec, s[12:13]
	v_mov_b32_e32 v4, s14
	s_and_saveexec_b64 s[12:13], s[10:11]
.LBB16_1573:
	v_lshrrev_b32_e32 v4, 24, v0
	s_movk_i32 s10, 0x80
	v_and_or_b32 v4, v4, s10, v1
.LBB16_1574:
	s_or_b64 exec, exec, s[12:13]
.LBB16_1575:
	s_or_b64 exec, exec, s[8:9]
	global_store_byte v[2:3], v4, off
.LBB16_1576:
	s_mov_b64 s[8:9], -1
.LBB16_1577:
	s_mov_b64 s[10:11], 0
.LBB16_1578:
	s_and_b64 vcc, exec, s[10:11]
	s_cbranch_vccz .LBB16_1618
; %bb.1579:
	v_mov_b32_e32 v1, 22
	v_cmp_gt_i16_sdwa s[10:11], v44, v1 src0_sel:BYTE_0 src1_sel:DWORD
	s_mov_b64 s[6:7], -1
	s_and_b64 vcc, exec, s[10:11]
	s_cbranch_vccz .LBB16_1611
; %bb.1580:
	v_mov_b32_e32 v1, 24
	v_cmp_lt_i16_sdwa s[8:9], v44, v1 src0_sel:BYTE_0 src1_sel:DWORD
	s_and_b64 vcc, exec, s[8:9]
	s_cbranch_vccnz .LBB16_1600
; %bb.1581:
	v_cmp_gt_i16_sdwa s[8:9], v44, v1 src0_sel:BYTE_0 src1_sel:DWORD
	s_and_b64 vcc, exec, s[8:9]
	s_cbranch_vccz .LBB16_1589
; %bb.1582:
	v_and_b32_e32 v1, 0x7fffffff, v0
	s_mov_b32 s6, 0x47800000
	v_cmp_gt_u32_e32 vcc, s6, v1
	v_mov_b32_e32 v4, 0x80
	s_and_saveexec_b64 s[6:7], vcc
	s_cbranch_execz .LBB16_1588
; %bb.1583:
	s_mov_b32 s8, 0x37ffffff
	v_cmp_lt_u32_e32 vcc, s8, v1
	s_mov_b64 s[8:9], 0
                                        ; implicit-def: $vgpr1
	s_and_saveexec_b64 s[10:11], vcc
	s_xor_b64 s[10:11], exec, s[10:11]
	s_cbranch_execz .LBB16_1675
; %bb.1584:
	v_bfe_u32 v1, v0, 21, 1
	s_mov_b32 s12, 0x88fffff
	v_add3_u32 v1, v0, v1, s12
	s_mov_b64 s[8:9], exec
	v_lshrrev_b32_e32 v1, 21, v1
	s_or_saveexec_b64 s[10:11], s[10:11]
                                        ; implicit-def: $sgpr12
	s_xor_b64 exec, exec, s[10:11]
	s_cbranch_execnz .LBB16_1676
.LBB16_1585:
	s_or_b64 exec, exec, s[10:11]
	v_mov_b32_e32 v4, s12
	s_and_saveexec_b64 s[10:11], s[8:9]
.LBB16_1586:
	v_lshrrev_b32_e32 v4, 24, v0
	s_movk_i32 s8, 0x80
	v_and_or_b32 v4, v4, s8, v1
.LBB16_1587:
	s_or_b64 exec, exec, s[10:11]
.LBB16_1588:
	s_or_b64 exec, exec, s[6:7]
	s_mov_b64 s[6:7], 0
	global_store_byte v[2:3], v4, off
.LBB16_1589:
	s_and_b64 vcc, exec, s[6:7]
	s_cbranch_vccz .LBB16_1599
; %bb.1590:
	v_and_b32_e32 v4, 0x7fffffff, v0
	s_mov_b32 s6, 0x43f00000
	v_cmp_gt_u32_e32 vcc, s6, v4
                                        ; implicit-def: $vgpr1
	s_and_saveexec_b64 s[6:7], vcc
	s_xor_b64 s[6:7], exec, s[6:7]
	s_cbranch_execz .LBB16_1596
; %bb.1591:
	s_mov_b32 s8, 0x3c7fffff
	v_cmp_lt_u32_e32 vcc, s8, v4
                                        ; implicit-def: $vgpr1
	s_and_saveexec_b64 s[8:9], vcc
	s_xor_b64 s[8:9], exec, s[8:9]
; %bb.1592:
	v_bfe_u32 v1, v0, 20, 1
	s_mov_b32 s10, 0x407ffff
	v_add3_u32 v1, v0, v1, s10
	v_lshrrev_b32_e32 v4, 20, v1
	v_and_b32_e32 v1, 0xff00000, v1
	s_mov_b32 s10, 0x7f00000
	v_mov_b32_e32 v5, 0x7e
	v_cmp_ne_u32_e32 vcc, s10, v1
	v_cndmask_b32_e32 v1, v5, v4, vcc
; %bb.1593:
	s_andn2_saveexec_b64 s[8:9], s[8:9]
; %bb.1594:
	s_mov_b32 s10, 0x46800000
	v_add_f32_e64 v1, |v0|, s10
; %bb.1595:
	s_or_b64 exec, exec, s[8:9]
                                        ; implicit-def: $vgpr4
.LBB16_1596:
	s_andn2_saveexec_b64 s[6:7], s[6:7]
; %bb.1597:
	s_mov_b32 s8, 0x7f800000
	v_mov_b32_e32 v1, 0x7e
	v_mov_b32_e32 v5, 0x7f
	v_cmp_lt_u32_e32 vcc, s8, v4
	v_cndmask_b32_e32 v1, v1, v5, vcc
; %bb.1598:
	s_or_b64 exec, exec, s[6:7]
	v_lshrrev_b32_e32 v4, 24, v0
	s_movk_i32 s6, 0x80
	v_and_or_b32 v1, v4, s6, v1
	global_store_byte v[2:3], v1, off
.LBB16_1599:
	s_mov_b64 s[6:7], 0
.LBB16_1600:
	s_andn2_b64 vcc, exec, s[6:7]
	s_cbranch_vccnz .LBB16_1610
; %bb.1601:
	v_and_b32_e32 v4, 0x7fffffff, v0
	s_mov_b32 s6, 0x47800000
	v_cmp_gt_u32_e32 vcc, s6, v4
                                        ; implicit-def: $vgpr1
	s_and_saveexec_b64 s[6:7], vcc
	s_xor_b64 s[6:7], exec, s[6:7]
	s_cbranch_execz .LBB16_1607
; %bb.1602:
	s_mov_b32 s8, 0x387fffff
	v_cmp_lt_u32_e32 vcc, s8, v4
                                        ; implicit-def: $vgpr1
	s_and_saveexec_b64 s[8:9], vcc
	s_xor_b64 s[8:9], exec, s[8:9]
; %bb.1603:
	v_bfe_u32 v1, v0, 21, 1
	s_mov_b32 s10, 0x80fffff
	v_add3_u32 v1, v0, v1, s10
	v_lshrrev_b32_e32 v1, 21, v1
; %bb.1604:
	s_andn2_saveexec_b64 s[8:9], s[8:9]
; %bb.1605:
	s_mov_b32 s10, 0x43000000
	v_add_f32_e64 v1, |v0|, s10
; %bb.1606:
	s_or_b64 exec, exec, s[8:9]
                                        ; implicit-def: $vgpr4
.LBB16_1607:
	s_andn2_saveexec_b64 s[6:7], s[6:7]
; %bb.1608:
	s_mov_b32 s8, 0x7f800000
	v_mov_b32_e32 v1, 0x7c
	v_mov_b32_e32 v5, 0x7f
	v_cmp_lt_u32_e32 vcc, s8, v4
	v_cndmask_b32_e32 v1, v1, v5, vcc
; %bb.1609:
	s_or_b64 exec, exec, s[6:7]
	v_lshrrev_b32_e32 v4, 24, v0
	s_movk_i32 s6, 0x80
	v_and_or_b32 v1, v4, s6, v1
	global_store_byte v[2:3], v1, off
.LBB16_1610:
	s_mov_b64 s[6:7], 0
	s_mov_b64 s[8:9], -1
.LBB16_1611:
	s_andn2_b64 vcc, exec, s[6:7]
	s_mov_b64 s[6:7], 0
	s_cbranch_vccnz .LBB16_1618
; %bb.1612:
	v_mov_b32_e32 v1, 14
	v_cmp_gt_i16_sdwa s[6:7], v44, v1 src0_sel:BYTE_0 src1_sel:DWORD
	s_mov_b64 s[10:11], -1
	s_and_b64 vcc, exec, s[6:7]
	s_cbranch_vccz .LBB16_1616
; %bb.1613:
	v_mov_b32_e32 v1, 15
	v_cmp_eq_u16_sdwa s[6:7], v44, v1 src0_sel:BYTE_0 src1_sel:DWORD
	s_mov_b64 s[4:5], -1
	s_and_b64 vcc, exec, s[6:7]
	s_cbranch_vccz .LBB16_1615
; %bb.1614:
	v_bfe_u32 v1, v0, 16, 1
	s_movk_i32 s4, 0x7fff
	v_add3_u32 v1, v0, v1, s4
	v_lshrrev_b32_e32 v1, 16, v1
	v_mov_b32_e32 v4, 0x7fc0
	v_cmp_o_f32_e32 vcc, v0, v0
	v_cndmask_b32_e32 v1, v4, v1, vcc
	global_store_short v[2:3], v1, off
	s_mov_b64 s[4:5], 0
	s_mov_b64 s[8:9], -1
.LBB16_1615:
	s_mov_b64 s[10:11], 0
.LBB16_1616:
	s_mov_b64 s[6:7], 0
	s_and_b64 vcc, exec, s[10:11]
	s_cbranch_vccz .LBB16_1618
; %bb.1617:
	v_mov_b32_e32 v1, 11
	v_cmp_ne_u16_sdwa s[4:5], v44, v1 src0_sel:BYTE_0 src1_sel:DWORD
	s_mov_b64 s[6:7], -1
.LBB16_1618:
	s_and_b64 vcc, exec, s[4:5]
	s_cbranch_vccnz .LBB16_1674
; %bb.1619:
	s_andn2_b64 vcc, exec, s[6:7]
	s_cbranch_vccnz .LBB16_1621
.LBB16_1620:
	v_cmp_neq_f32_e32 vcc, 0, v0
	v_cndmask_b32_e64 v1, 0, 1, vcc
	s_mov_b64 s[8:9], -1
	global_store_byte v[2:3], v1, off
.LBB16_1621:
	s_mov_b64 s[4:5], 0
.LBB16_1622:
	s_and_b64 vcc, exec, s[4:5]
	s_cbranch_vccz .LBB16_1661
; %bb.1623:
	v_mov_b32_e32 v1, 5
	v_cmp_lt_i16_sdwa s[6:7], v44, v1 src0_sel:BYTE_0 src1_sel:DWORD
	s_mov_b64 s[4:5], -1
	s_and_b64 vcc, exec, s[6:7]
	s_cbranch_vccnz .LBB16_1644
; %bb.1624:
	v_mov_b32_e32 v1, 8
	v_cmp_lt_i16_sdwa s[6:7], v44, v1 src0_sel:BYTE_0 src1_sel:DWORD
	s_and_b64 vcc, exec, s[6:7]
	s_cbranch_vccnz .LBB16_1634
; %bb.1625:
	v_mov_b32_e32 v1, 9
	v_cmp_lt_i16_sdwa s[6:7], v44, v1 src0_sel:BYTE_0 src1_sel:DWORD
	s_and_b64 vcc, exec, s[6:7]
	s_cbranch_vccnz .LBB16_1631
; %bb.1626:
	v_cmp_gt_i16_sdwa s[6:7], v44, v1 src0_sel:BYTE_0 src1_sel:DWORD
	s_and_b64 vcc, exec, s[6:7]
	s_cbranch_vccz .LBB16_1628
; %bb.1627:
	v_mov_b32_e32 v6, 0
	v_cvt_f64_f32_e32 v[4:5], v0
	v_mov_b32_e32 v7, v6
	global_store_dwordx4 v[2:3], v[4:7], off
	s_mov_b64 s[4:5], 0
.LBB16_1628:
	s_andn2_b64 vcc, exec, s[4:5]
	s_cbranch_vccnz .LBB16_1630
; %bb.1629:
	v_mov_b32_e32 v1, 0
	global_store_dwordx2 v[2:3], v[0:1], off
.LBB16_1630:
	s_mov_b64 s[4:5], 0
.LBB16_1631:
	s_andn2_b64 vcc, exec, s[4:5]
	s_cbranch_vccnz .LBB16_1633
; %bb.1632:
	v_cvt_f16_f32_e32 v1, v0
	global_store_dword v[2:3], v1, off
.LBB16_1633:
	s_mov_b64 s[4:5], 0
.LBB16_1634:
	s_andn2_b64 vcc, exec, s[4:5]
	s_cbranch_vccnz .LBB16_1643
; %bb.1635:
	v_mov_b32_e32 v1, 6
	v_cmp_lt_i16_sdwa s[6:7], v44, v1 src0_sel:BYTE_0 src1_sel:DWORD
	s_mov_b64 s[4:5], -1
	s_and_b64 vcc, exec, s[6:7]
	s_cbranch_vccnz .LBB16_1641
; %bb.1636:
	v_cmp_gt_i16_sdwa s[6:7], v44, v1 src0_sel:BYTE_0 src1_sel:DWORD
	s_and_b64 vcc, exec, s[6:7]
	s_cbranch_vccz .LBB16_1638
; %bb.1637:
	v_cvt_f64_f32_e32 v[4:5], v0
	global_store_dwordx2 v[2:3], v[4:5], off
	s_mov_b64 s[4:5], 0
.LBB16_1638:
	s_andn2_b64 vcc, exec, s[4:5]
	s_cbranch_vccnz .LBB16_1640
; %bb.1639:
	global_store_dword v[2:3], v0, off
.LBB16_1640:
	s_mov_b64 s[4:5], 0
.LBB16_1641:
	s_andn2_b64 vcc, exec, s[4:5]
	s_cbranch_vccnz .LBB16_1643
; %bb.1642:
	v_cvt_f16_f32_e32 v1, v0
	global_store_short v[2:3], v1, off
.LBB16_1643:
	s_mov_b64 s[4:5], 0
.LBB16_1644:
	s_andn2_b64 vcc, exec, s[4:5]
	s_cbranch_vccnz .LBB16_1660
; %bb.1645:
	v_mov_b32_e32 v1, 2
	v_cmp_lt_i16_sdwa s[6:7], v44, v1 src0_sel:BYTE_0 src1_sel:DWORD
	s_mov_b64 s[4:5], -1
	s_and_b64 vcc, exec, s[6:7]
	s_cbranch_vccnz .LBB16_1655
; %bb.1646:
	v_mov_b32_e32 v1, 3
	v_cmp_lt_i16_sdwa s[6:7], v44, v1 src0_sel:BYTE_0 src1_sel:DWORD
	s_and_b64 vcc, exec, s[6:7]
	s_cbranch_vccnz .LBB16_1652
; %bb.1647:
	v_cmp_gt_i16_sdwa s[6:7], v44, v1 src0_sel:BYTE_0 src1_sel:DWORD
	s_and_b64 vcc, exec, s[6:7]
	s_cbranch_vccz .LBB16_1649
; %bb.1648:
	v_trunc_f32_e32 v1, v0
	s_mov_b32 s4, 0x2f800000
	v_mul_f32_e64 v4, |v1|, s4
	v_floor_f32_e32 v4, v4
	s_mov_b32 s4, 0xcf800000
	v_cvt_u32_f32_e32 v5, v4
	v_fma_f32 v4, v4, s4, |v1|
	v_cvt_u32_f32_e32 v4, v4
	v_ashrrev_i32_e32 v1, 31, v1
	v_xor_b32_e32 v5, v5, v1
	s_mov_b64 s[4:5], 0
	v_xor_b32_e32 v4, v4, v1
	v_sub_co_u32_e32 v4, vcc, v4, v1
	v_subb_co_u32_e32 v5, vcc, v5, v1, vcc
	global_store_dwordx2 v[2:3], v[4:5], off
.LBB16_1649:
	s_andn2_b64 vcc, exec, s[4:5]
	s_cbranch_vccnz .LBB16_1651
; %bb.1650:
	v_cvt_i32_f32_e32 v1, v0
	global_store_dword v[2:3], v1, off
.LBB16_1651:
	s_mov_b64 s[4:5], 0
.LBB16_1652:
	s_andn2_b64 vcc, exec, s[4:5]
	s_cbranch_vccnz .LBB16_1654
; %bb.1653:
	v_cvt_i32_f32_e32 v1, v0
	global_store_short v[2:3], v1, off
.LBB16_1654:
	s_mov_b64 s[4:5], 0
.LBB16_1655:
	s_andn2_b64 vcc, exec, s[4:5]
	s_cbranch_vccnz .LBB16_1660
; %bb.1656:
	v_mov_b32_e32 v1, 0
	v_cmp_gt_i16_sdwa s[6:7], v44, v1 src0_sel:BYTE_0 src1_sel:DWORD
	s_mov_b64 s[4:5], -1
	s_and_b64 vcc, exec, s[6:7]
	s_cbranch_vccz .LBB16_1658
; %bb.1657:
	v_cvt_i32_f32_e32 v1, v0
	s_mov_b64 s[4:5], 0
	global_store_byte v[2:3], v1, off
.LBB16_1658:
	s_andn2_b64 vcc, exec, s[4:5]
	s_cbranch_vccnz .LBB16_1660
; %bb.1659:
	v_trunc_f32_e32 v0, v0
	s_mov_b32 s4, 0x2f800000
	v_mul_f32_e64 v1, |v0|, s4
	v_floor_f32_e32 v1, v1
	s_mov_b32 s4, 0xcf800000
	v_fma_f32 v1, v1, s4, |v0|
	v_cvt_u32_f32_e32 v1, v1
	v_ashrrev_i32_e32 v0, 31, v0
	v_xor_b32_e32 v1, v1, v0
	v_sub_u32_e32 v0, v1, v0
	global_store_byte v[2:3], v0, off
.LBB16_1660:
	s_mov_b64 s[8:9], -1
.LBB16_1661:
	s_andn2_b64 vcc, exec, s[8:9]
	s_cbranch_vccnz .LBB16_1992
; %bb.1662:
	v_mov_b32_e32 v0, v41
	s_getpc_b64 s[4:5]
	s_add_u32 s4, s4, _Z17bessel_j1_forwardIfET_S0_@rel32@lo+4
	s_addc_u32 s5, s5, _Z17bessel_j1_forwardIfET_S0_@rel32@hi+12
	s_swappc_b64 s[30:31], s[4:5]
	s_lshl_b32 s38, s40, 7
	v_add_u32_e32 v41, s38, v45
	v_ashrrev_i32_e32 v1, 31, v41
	v_mov_b32_e32 v3, s37
	v_add_co_u32_e32 v2, vcc, s36, v41
	v_addc_co_u32_e32 v3, vcc, v3, v1, vcc
	v_mov_b32_e32 v1, 11
	v_cmp_lt_i16_sdwa s[4:5], v44, v1 src0_sel:BYTE_0 src1_sel:DWORD
	s_and_b64 vcc, exec, s[4:5]
	s_cbranch_vccnz .LBB16_1669
; %bb.1663:
	v_mov_b32_e32 v1, 25
	v_cmp_gt_i16_sdwa s[4:5], v44, v1 src0_sel:BYTE_0 src1_sel:DWORD
	s_mov_b64 s[10:11], -1
	s_mov_b64 s[6:7], 0
	s_and_b64 vcc, exec, s[4:5]
	s_mov_b64 s[8:9], 0
	s_mov_b64 s[4:5], 0
	s_cbranch_vccz .LBB16_1705
; %bb.1664:
	v_mov_b32_e32 v1, 28
	v_cmp_gt_i16_sdwa s[4:5], v44, v1 src0_sel:BYTE_0 src1_sel:DWORD
	s_and_b64 vcc, exec, s[4:5]
	s_cbranch_vccz .LBB16_1670
; %bb.1665:
	v_mov_b32_e32 v1, 43
	v_cmp_gt_i16_sdwa s[4:5], v44, v1 src0_sel:BYTE_0 src1_sel:DWORD
	s_and_b64 vcc, exec, s[4:5]
	;; [unrolled: 5-line block ×3, first 2 shown]
	s_cbranch_vccz .LBB16_1677
; %bb.1667:
	v_mov_b32_e32 v1, 46
	v_cmp_eq_u16_sdwa s[8:9], v44, v1 src0_sel:BYTE_0 src1_sel:DWORD
	s_mov_b64 s[4:5], -1
	s_mov_b64 s[10:11], 0
	s_and_b64 vcc, exec, s[8:9]
	s_mov_b64 s[8:9], 0
	s_cbranch_vccz .LBB16_1678
; %bb.1668:
	v_bfe_u32 v1, v0, 16, 1
	s_movk_i32 s4, 0x7fff
	v_add3_u32 v1, v0, v1, s4
	v_lshrrev_b32_e32 v1, 16, v1
	v_mov_b32_e32 v4, 0x7fc0
	v_cmp_o_f32_e32 vcc, v0, v0
	v_cndmask_b32_e32 v1, v4, v1, vcc
	global_store_dword v[2:3], v1, off
	s_mov_b64 s[4:5], 0
	s_mov_b64 s[8:9], -1
	s_branch .LBB16_1678
.LBB16_1669:
	s_mov_b64 s[4:5], -1
	s_mov_b64 s[8:9], 0
	s_branch .LBB16_1749
.LBB16_1670:
	s_mov_b64 s[4:5], 0
	s_branch .LBB16_1688
.LBB16_1671:
	s_or_saveexec_b64 s[12:13], s[12:13]
                                        ; implicit-def: $sgpr14
	s_xor_b64 exec, exec, s[12:13]
	s_cbranch_execz .LBB16_1572
.LBB16_1672:
	s_mov_b32 s14, 0x46000000
	v_add_f32_e64 v1, |v0|, s14
	v_and_b32_e32 v1, 0xff, v1
	v_cmp_ne_u32_e32 vcc, 0, v1
	s_andn2_b64 s[10:11], s[10:11], exec
	s_and_b64 s[16:17], vcc, exec
	s_mov_b32 s14, 0
	s_or_b64 s[10:11], s[10:11], s[16:17]
	s_or_b64 exec, exec, s[12:13]
	v_mov_b32_e32 v4, s14
	s_and_saveexec_b64 s[12:13], s[10:11]
	s_cbranch_execnz .LBB16_1573
	s_branch .LBB16_1574
.LBB16_1673:
	s_mov_b64 s[4:5], 0
	s_branch .LBB16_1684
.LBB16_1674:
	s_trap 2
	s_or_b64 s[48:49], s[48:49], exec
	s_cbranch_execz .LBB16_1620
	s_branch .LBB16_1621
.LBB16_1675:
	s_or_saveexec_b64 s[10:11], s[10:11]
                                        ; implicit-def: $sgpr12
	s_xor_b64 exec, exec, s[10:11]
	s_cbranch_execz .LBB16_1585
.LBB16_1676:
	s_mov_b32 s12, 0x42800000
	v_add_f32_e64 v1, |v0|, s12
	v_and_b32_e32 v1, 0xff, v1
	v_cmp_ne_u32_e32 vcc, 0, v1
	s_andn2_b64 s[8:9], s[8:9], exec
	s_and_b64 s[14:15], vcc, exec
	s_mov_b32 s12, 0
	s_or_b64 s[8:9], s[8:9], s[14:15]
	s_or_b64 exec, exec, s[10:11]
	v_mov_b32_e32 v4, s12
	s_and_saveexec_b64 s[10:11], s[8:9]
	s_cbranch_execnz .LBB16_1586
	s_branch .LBB16_1587
.LBB16_1677:
	s_mov_b64 s[4:5], 0
.LBB16_1678:
	s_and_b64 vcc, exec, s[10:11]
	s_cbranch_vccz .LBB16_1683
; %bb.1679:
	v_mov_b32_e32 v1, 44
	v_cmp_eq_u16_sdwa s[10:11], v44, v1 src0_sel:BYTE_0 src1_sel:DWORD
	s_mov_b64 s[4:5], -1
	s_and_b64 vcc, exec, s[10:11]
	s_cbranch_vccz .LBB16_1683
; %bb.1680:
	v_bfe_u32 v1, v0, 23, 8
	s_movk_i32 s4, 0xff
	v_cmp_ne_u32_e32 vcc, s4, v1
	v_mov_b32_e32 v4, 0xff
	s_and_saveexec_b64 s[8:9], vcc
; %bb.1681:
	s_mov_b32 s4, 0x3fffff
	v_and_b32_e32 v5, 0x400000, v0
	v_and_or_b32 v1, v0, s4, v1
	v_cmp_ne_u32_e32 vcc, 0, v5
	v_cmp_ne_u32_e64 s[4:5], 0, v1
	s_and_b64 s[4:5], vcc, s[4:5]
	v_lshrrev_b32_e32 v4, 23, v0
	v_cndmask_b32_e64 v1, 0, 1, s[4:5]
	v_add_u32_e32 v4, v4, v1
; %bb.1682:
	s_or_b64 exec, exec, s[8:9]
	s_mov_b64 s[4:5], 0
	s_mov_b64 s[8:9], -1
	global_store_byte v[2:3], v4, off
.LBB16_1683:
	s_mov_b64 s[10:11], 0
.LBB16_1684:
	s_and_b64 vcc, exec, s[10:11]
	s_cbranch_vccz .LBB16_1687
; %bb.1685:
	v_mov_b32_e32 v1, 29
	v_cmp_eq_u16_sdwa s[10:11], v44, v1 src0_sel:BYTE_0 src1_sel:DWORD
	s_mov_b64 s[4:5], -1
	s_and_b64 vcc, exec, s[10:11]
	s_cbranch_vccz .LBB16_1687
; %bb.1686:
	v_trunc_f32_e32 v1, v0
	v_mul_f32_e32 v4, 0x2f800000, v1
	v_floor_f32_e32 v4, v4
	v_fmac_f32_e32 v1, 0xcf800000, v4
	v_cvt_u32_f32_e32 v5, v4
	v_cvt_u32_f32_e32 v4, v1
	s_mov_b64 s[4:5], 0
	s_mov_b64 s[8:9], -1
	s_mov_b64 s[10:11], 0
	global_store_dwordx2 v[2:3], v[4:5], off
	s_branch .LBB16_1688
.LBB16_1687:
	s_mov_b64 s[10:11], 0
.LBB16_1688:
	s_and_b64 vcc, exec, s[10:11]
	s_cbranch_vccz .LBB16_1704
; %bb.1689:
	v_mov_b32_e32 v1, 27
	v_cmp_lt_i16_sdwa s[10:11], v44, v1 src0_sel:BYTE_0 src1_sel:DWORD
	s_mov_b64 s[8:9], -1
	s_and_b64 vcc, exec, s[10:11]
	s_cbranch_vccnz .LBB16_1695
; %bb.1690:
	v_cmp_gt_i16_sdwa s[10:11], v44, v1 src0_sel:BYTE_0 src1_sel:DWORD
	v_cvt_u32_f32_e32 v1, v0
	s_and_b64 vcc, exec, s[10:11]
	s_cbranch_vccz .LBB16_1692
; %bb.1691:
	s_mov_b64 s[8:9], 0
	global_store_dword v[2:3], v1, off
.LBB16_1692:
	s_andn2_b64 vcc, exec, s[8:9]
	s_cbranch_vccnz .LBB16_1694
; %bb.1693:
	global_store_short v[2:3], v1, off
.LBB16_1694:
	s_mov_b64 s[8:9], 0
.LBB16_1695:
	s_andn2_b64 vcc, exec, s[8:9]
	s_cbranch_vccnz .LBB16_1703
; %bb.1696:
	v_and_b32_e32 v1, 0x7fffffff, v0
	s_mov_b32 s8, 0x43800000
	v_cmp_gt_u32_e32 vcc, s8, v1
	v_mov_b32_e32 v4, 0x80
	s_and_saveexec_b64 s[8:9], vcc
	s_cbranch_execz .LBB16_1702
; %bb.1697:
	s_mov_b32 s10, 0x3bffffff
	v_cmp_lt_u32_e32 vcc, s10, v1
	s_mov_b64 s[10:11], 0
                                        ; implicit-def: $vgpr1
	s_and_saveexec_b64 s[12:13], vcc
	s_xor_b64 s[12:13], exec, s[12:13]
	s_cbranch_execz .LBB16_1798
; %bb.1698:
	v_bfe_u32 v1, v0, 20, 1
	s_mov_b32 s14, 0x487ffff
	v_add3_u32 v1, v0, v1, s14
	s_mov_b64 s[10:11], exec
	v_lshrrev_b32_e32 v1, 20, v1
	s_or_saveexec_b64 s[12:13], s[12:13]
                                        ; implicit-def: $sgpr14
	s_xor_b64 exec, exec, s[12:13]
	s_cbranch_execnz .LBB16_1799
.LBB16_1699:
	s_or_b64 exec, exec, s[12:13]
	v_mov_b32_e32 v4, s14
	s_and_saveexec_b64 s[12:13], s[10:11]
.LBB16_1700:
	v_lshrrev_b32_e32 v4, 24, v0
	s_movk_i32 s10, 0x80
	v_and_or_b32 v4, v4, s10, v1
.LBB16_1701:
	s_or_b64 exec, exec, s[12:13]
.LBB16_1702:
	s_or_b64 exec, exec, s[8:9]
	global_store_byte v[2:3], v4, off
.LBB16_1703:
	s_mov_b64 s[8:9], -1
.LBB16_1704:
	s_mov_b64 s[10:11], 0
.LBB16_1705:
	s_and_b64 vcc, exec, s[10:11]
	s_cbranch_vccz .LBB16_1745
; %bb.1706:
	v_mov_b32_e32 v1, 22
	v_cmp_gt_i16_sdwa s[10:11], v44, v1 src0_sel:BYTE_0 src1_sel:DWORD
	s_mov_b64 s[6:7], -1
	s_and_b64 vcc, exec, s[10:11]
	s_cbranch_vccz .LBB16_1738
; %bb.1707:
	v_mov_b32_e32 v1, 24
	v_cmp_lt_i16_sdwa s[8:9], v44, v1 src0_sel:BYTE_0 src1_sel:DWORD
	s_and_b64 vcc, exec, s[8:9]
	s_cbranch_vccnz .LBB16_1727
; %bb.1708:
	v_cmp_gt_i16_sdwa s[8:9], v44, v1 src0_sel:BYTE_0 src1_sel:DWORD
	s_and_b64 vcc, exec, s[8:9]
	s_cbranch_vccz .LBB16_1716
; %bb.1709:
	v_and_b32_e32 v1, 0x7fffffff, v0
	s_mov_b32 s6, 0x47800000
	v_cmp_gt_u32_e32 vcc, s6, v1
	v_mov_b32_e32 v4, 0x80
	s_and_saveexec_b64 s[6:7], vcc
	s_cbranch_execz .LBB16_1715
; %bb.1710:
	s_mov_b32 s8, 0x37ffffff
	v_cmp_lt_u32_e32 vcc, s8, v1
	s_mov_b64 s[8:9], 0
                                        ; implicit-def: $vgpr1
	s_and_saveexec_b64 s[10:11], vcc
	s_xor_b64 s[10:11], exec, s[10:11]
	s_cbranch_execz .LBB16_1802
; %bb.1711:
	v_bfe_u32 v1, v0, 21, 1
	s_mov_b32 s12, 0x88fffff
	v_add3_u32 v1, v0, v1, s12
	s_mov_b64 s[8:9], exec
	v_lshrrev_b32_e32 v1, 21, v1
	s_or_saveexec_b64 s[10:11], s[10:11]
                                        ; implicit-def: $sgpr12
	s_xor_b64 exec, exec, s[10:11]
	s_cbranch_execnz .LBB16_1803
.LBB16_1712:
	s_or_b64 exec, exec, s[10:11]
	v_mov_b32_e32 v4, s12
	s_and_saveexec_b64 s[10:11], s[8:9]
.LBB16_1713:
	v_lshrrev_b32_e32 v4, 24, v0
	s_movk_i32 s8, 0x80
	v_and_or_b32 v4, v4, s8, v1
.LBB16_1714:
	s_or_b64 exec, exec, s[10:11]
.LBB16_1715:
	s_or_b64 exec, exec, s[6:7]
	s_mov_b64 s[6:7], 0
	global_store_byte v[2:3], v4, off
.LBB16_1716:
	s_and_b64 vcc, exec, s[6:7]
	s_cbranch_vccz .LBB16_1726
; %bb.1717:
	v_and_b32_e32 v4, 0x7fffffff, v0
	s_mov_b32 s6, 0x43f00000
	v_cmp_gt_u32_e32 vcc, s6, v4
                                        ; implicit-def: $vgpr1
	s_and_saveexec_b64 s[6:7], vcc
	s_xor_b64 s[6:7], exec, s[6:7]
	s_cbranch_execz .LBB16_1723
; %bb.1718:
	s_mov_b32 s8, 0x3c7fffff
	v_cmp_lt_u32_e32 vcc, s8, v4
                                        ; implicit-def: $vgpr1
	s_and_saveexec_b64 s[8:9], vcc
	s_xor_b64 s[8:9], exec, s[8:9]
; %bb.1719:
	v_bfe_u32 v1, v0, 20, 1
	s_mov_b32 s10, 0x407ffff
	v_add3_u32 v1, v0, v1, s10
	v_lshrrev_b32_e32 v4, 20, v1
	v_and_b32_e32 v1, 0xff00000, v1
	s_mov_b32 s10, 0x7f00000
	v_mov_b32_e32 v5, 0x7e
	v_cmp_ne_u32_e32 vcc, s10, v1
	v_cndmask_b32_e32 v1, v5, v4, vcc
; %bb.1720:
	s_andn2_saveexec_b64 s[8:9], s[8:9]
; %bb.1721:
	s_mov_b32 s10, 0x46800000
	v_add_f32_e64 v1, |v0|, s10
; %bb.1722:
	s_or_b64 exec, exec, s[8:9]
                                        ; implicit-def: $vgpr4
.LBB16_1723:
	s_andn2_saveexec_b64 s[6:7], s[6:7]
; %bb.1724:
	s_mov_b32 s8, 0x7f800000
	v_mov_b32_e32 v1, 0x7e
	v_mov_b32_e32 v5, 0x7f
	v_cmp_lt_u32_e32 vcc, s8, v4
	v_cndmask_b32_e32 v1, v1, v5, vcc
; %bb.1725:
	s_or_b64 exec, exec, s[6:7]
	v_lshrrev_b32_e32 v4, 24, v0
	s_movk_i32 s6, 0x80
	v_and_or_b32 v1, v4, s6, v1
	global_store_byte v[2:3], v1, off
.LBB16_1726:
	s_mov_b64 s[6:7], 0
.LBB16_1727:
	s_andn2_b64 vcc, exec, s[6:7]
	s_cbranch_vccnz .LBB16_1737
; %bb.1728:
	v_and_b32_e32 v4, 0x7fffffff, v0
	s_mov_b32 s6, 0x47800000
	v_cmp_gt_u32_e32 vcc, s6, v4
                                        ; implicit-def: $vgpr1
	s_and_saveexec_b64 s[6:7], vcc
	s_xor_b64 s[6:7], exec, s[6:7]
	s_cbranch_execz .LBB16_1734
; %bb.1729:
	s_mov_b32 s8, 0x387fffff
	v_cmp_lt_u32_e32 vcc, s8, v4
                                        ; implicit-def: $vgpr1
	s_and_saveexec_b64 s[8:9], vcc
	s_xor_b64 s[8:9], exec, s[8:9]
; %bb.1730:
	v_bfe_u32 v1, v0, 21, 1
	s_mov_b32 s10, 0x80fffff
	v_add3_u32 v1, v0, v1, s10
	v_lshrrev_b32_e32 v1, 21, v1
; %bb.1731:
	s_andn2_saveexec_b64 s[8:9], s[8:9]
; %bb.1732:
	s_mov_b32 s10, 0x43000000
	v_add_f32_e64 v1, |v0|, s10
; %bb.1733:
	s_or_b64 exec, exec, s[8:9]
                                        ; implicit-def: $vgpr4
.LBB16_1734:
	s_andn2_saveexec_b64 s[6:7], s[6:7]
; %bb.1735:
	s_mov_b32 s8, 0x7f800000
	v_mov_b32_e32 v1, 0x7c
	v_mov_b32_e32 v5, 0x7f
	v_cmp_lt_u32_e32 vcc, s8, v4
	v_cndmask_b32_e32 v1, v1, v5, vcc
; %bb.1736:
	s_or_b64 exec, exec, s[6:7]
	v_lshrrev_b32_e32 v4, 24, v0
	s_movk_i32 s6, 0x80
	v_and_or_b32 v1, v4, s6, v1
	global_store_byte v[2:3], v1, off
.LBB16_1737:
	s_mov_b64 s[6:7], 0
	s_mov_b64 s[8:9], -1
.LBB16_1738:
	s_andn2_b64 vcc, exec, s[6:7]
	s_mov_b64 s[6:7], 0
	s_cbranch_vccnz .LBB16_1745
; %bb.1739:
	v_mov_b32_e32 v1, 14
	v_cmp_gt_i16_sdwa s[6:7], v44, v1 src0_sel:BYTE_0 src1_sel:DWORD
	s_mov_b64 s[10:11], -1
	s_and_b64 vcc, exec, s[6:7]
	s_cbranch_vccz .LBB16_1743
; %bb.1740:
	v_mov_b32_e32 v1, 15
	v_cmp_eq_u16_sdwa s[6:7], v44, v1 src0_sel:BYTE_0 src1_sel:DWORD
	s_mov_b64 s[4:5], -1
	s_and_b64 vcc, exec, s[6:7]
	s_cbranch_vccz .LBB16_1742
; %bb.1741:
	v_bfe_u32 v1, v0, 16, 1
	s_movk_i32 s4, 0x7fff
	v_add3_u32 v1, v0, v1, s4
	v_lshrrev_b32_e32 v1, 16, v1
	v_mov_b32_e32 v4, 0x7fc0
	v_cmp_o_f32_e32 vcc, v0, v0
	v_cndmask_b32_e32 v1, v4, v1, vcc
	global_store_short v[2:3], v1, off
	s_mov_b64 s[4:5], 0
	s_mov_b64 s[8:9], -1
.LBB16_1742:
	s_mov_b64 s[10:11], 0
.LBB16_1743:
	s_mov_b64 s[6:7], 0
	s_and_b64 vcc, exec, s[10:11]
	s_cbranch_vccz .LBB16_1745
; %bb.1744:
	v_mov_b32_e32 v1, 11
	v_cmp_ne_u16_sdwa s[4:5], v44, v1 src0_sel:BYTE_0 src1_sel:DWORD
	s_mov_b64 s[6:7], -1
.LBB16_1745:
	s_and_b64 vcc, exec, s[4:5]
	s_cbranch_vccnz .LBB16_1801
; %bb.1746:
	s_andn2_b64 vcc, exec, s[6:7]
	s_cbranch_vccnz .LBB16_1748
.LBB16_1747:
	v_cmp_neq_f32_e32 vcc, 0, v0
	v_cndmask_b32_e64 v1, 0, 1, vcc
	s_mov_b64 s[8:9], -1
	global_store_byte v[2:3], v1, off
.LBB16_1748:
	s_mov_b64 s[4:5], 0
.LBB16_1749:
	s_and_b64 vcc, exec, s[4:5]
	s_cbranch_vccz .LBB16_1788
; %bb.1750:
	v_mov_b32_e32 v1, 5
	v_cmp_lt_i16_sdwa s[6:7], v44, v1 src0_sel:BYTE_0 src1_sel:DWORD
	s_mov_b64 s[4:5], -1
	s_and_b64 vcc, exec, s[6:7]
	s_cbranch_vccnz .LBB16_1771
; %bb.1751:
	v_mov_b32_e32 v1, 8
	v_cmp_lt_i16_sdwa s[6:7], v44, v1 src0_sel:BYTE_0 src1_sel:DWORD
	s_and_b64 vcc, exec, s[6:7]
	s_cbranch_vccnz .LBB16_1761
; %bb.1752:
	v_mov_b32_e32 v1, 9
	v_cmp_lt_i16_sdwa s[6:7], v44, v1 src0_sel:BYTE_0 src1_sel:DWORD
	s_and_b64 vcc, exec, s[6:7]
	s_cbranch_vccnz .LBB16_1758
; %bb.1753:
	v_cmp_gt_i16_sdwa s[6:7], v44, v1 src0_sel:BYTE_0 src1_sel:DWORD
	s_and_b64 vcc, exec, s[6:7]
	s_cbranch_vccz .LBB16_1755
; %bb.1754:
	v_mov_b32_e32 v6, 0
	v_cvt_f64_f32_e32 v[4:5], v0
	v_mov_b32_e32 v7, v6
	global_store_dwordx4 v[2:3], v[4:7], off
	s_mov_b64 s[4:5], 0
.LBB16_1755:
	s_andn2_b64 vcc, exec, s[4:5]
	s_cbranch_vccnz .LBB16_1757
; %bb.1756:
	v_mov_b32_e32 v1, 0
	global_store_dwordx2 v[2:3], v[0:1], off
.LBB16_1757:
	s_mov_b64 s[4:5], 0
.LBB16_1758:
	s_andn2_b64 vcc, exec, s[4:5]
	s_cbranch_vccnz .LBB16_1760
; %bb.1759:
	v_cvt_f16_f32_e32 v1, v0
	global_store_dword v[2:3], v1, off
.LBB16_1760:
	s_mov_b64 s[4:5], 0
.LBB16_1761:
	s_andn2_b64 vcc, exec, s[4:5]
	s_cbranch_vccnz .LBB16_1770
; %bb.1762:
	v_mov_b32_e32 v1, 6
	v_cmp_lt_i16_sdwa s[6:7], v44, v1 src0_sel:BYTE_0 src1_sel:DWORD
	s_mov_b64 s[4:5], -1
	s_and_b64 vcc, exec, s[6:7]
	s_cbranch_vccnz .LBB16_1768
; %bb.1763:
	v_cmp_gt_i16_sdwa s[6:7], v44, v1 src0_sel:BYTE_0 src1_sel:DWORD
	s_and_b64 vcc, exec, s[6:7]
	s_cbranch_vccz .LBB16_1765
; %bb.1764:
	v_cvt_f64_f32_e32 v[4:5], v0
	global_store_dwordx2 v[2:3], v[4:5], off
	s_mov_b64 s[4:5], 0
.LBB16_1765:
	s_andn2_b64 vcc, exec, s[4:5]
	s_cbranch_vccnz .LBB16_1767
; %bb.1766:
	global_store_dword v[2:3], v0, off
.LBB16_1767:
	s_mov_b64 s[4:5], 0
.LBB16_1768:
	s_andn2_b64 vcc, exec, s[4:5]
	s_cbranch_vccnz .LBB16_1770
; %bb.1769:
	v_cvt_f16_f32_e32 v1, v0
	global_store_short v[2:3], v1, off
.LBB16_1770:
	s_mov_b64 s[4:5], 0
.LBB16_1771:
	s_andn2_b64 vcc, exec, s[4:5]
	s_cbranch_vccnz .LBB16_1787
; %bb.1772:
	v_mov_b32_e32 v1, 2
	v_cmp_lt_i16_sdwa s[6:7], v44, v1 src0_sel:BYTE_0 src1_sel:DWORD
	s_mov_b64 s[4:5], -1
	s_and_b64 vcc, exec, s[6:7]
	s_cbranch_vccnz .LBB16_1782
; %bb.1773:
	v_mov_b32_e32 v1, 3
	v_cmp_lt_i16_sdwa s[6:7], v44, v1 src0_sel:BYTE_0 src1_sel:DWORD
	s_and_b64 vcc, exec, s[6:7]
	s_cbranch_vccnz .LBB16_1779
; %bb.1774:
	v_cmp_gt_i16_sdwa s[6:7], v44, v1 src0_sel:BYTE_0 src1_sel:DWORD
	s_and_b64 vcc, exec, s[6:7]
	s_cbranch_vccz .LBB16_1776
; %bb.1775:
	v_trunc_f32_e32 v1, v0
	s_mov_b32 s4, 0x2f800000
	v_mul_f32_e64 v4, |v1|, s4
	v_floor_f32_e32 v4, v4
	s_mov_b32 s4, 0xcf800000
	v_cvt_u32_f32_e32 v5, v4
	v_fma_f32 v4, v4, s4, |v1|
	v_cvt_u32_f32_e32 v4, v4
	v_ashrrev_i32_e32 v1, 31, v1
	v_xor_b32_e32 v5, v5, v1
	s_mov_b64 s[4:5], 0
	v_xor_b32_e32 v4, v4, v1
	v_sub_co_u32_e32 v4, vcc, v4, v1
	v_subb_co_u32_e32 v5, vcc, v5, v1, vcc
	global_store_dwordx2 v[2:3], v[4:5], off
.LBB16_1776:
	s_andn2_b64 vcc, exec, s[4:5]
	s_cbranch_vccnz .LBB16_1778
; %bb.1777:
	v_cvt_i32_f32_e32 v1, v0
	global_store_dword v[2:3], v1, off
.LBB16_1778:
	s_mov_b64 s[4:5], 0
.LBB16_1779:
	s_andn2_b64 vcc, exec, s[4:5]
	s_cbranch_vccnz .LBB16_1781
; %bb.1780:
	v_cvt_i32_f32_e32 v1, v0
	global_store_short v[2:3], v1, off
.LBB16_1781:
	s_mov_b64 s[4:5], 0
.LBB16_1782:
	s_andn2_b64 vcc, exec, s[4:5]
	s_cbranch_vccnz .LBB16_1787
; %bb.1783:
	v_mov_b32_e32 v1, 0
	v_cmp_gt_i16_sdwa s[6:7], v44, v1 src0_sel:BYTE_0 src1_sel:DWORD
	s_mov_b64 s[4:5], -1
	s_and_b64 vcc, exec, s[6:7]
	s_cbranch_vccz .LBB16_1785
; %bb.1784:
	v_cvt_i32_f32_e32 v1, v0
	s_mov_b64 s[4:5], 0
	global_store_byte v[2:3], v1, off
.LBB16_1785:
	s_andn2_b64 vcc, exec, s[4:5]
	s_cbranch_vccnz .LBB16_1787
; %bb.1786:
	v_trunc_f32_e32 v0, v0
	s_mov_b32 s4, 0x2f800000
	v_mul_f32_e64 v1, |v0|, s4
	v_floor_f32_e32 v1, v1
	s_mov_b32 s4, 0xcf800000
	v_fma_f32 v1, v1, s4, |v0|
	v_cvt_u32_f32_e32 v1, v1
	v_ashrrev_i32_e32 v0, 31, v0
	v_xor_b32_e32 v1, v1, v0
	v_sub_u32_e32 v0, v1, v0
	global_store_byte v[2:3], v0, off
.LBB16_1787:
	s_mov_b64 s[8:9], -1
.LBB16_1788:
	s_andn2_b64 vcc, exec, s[8:9]
	s_cbranch_vccnz .LBB16_1992
; %bb.1789:
	v_mov_b32_e32 v0, v42
	s_getpc_b64 s[4:5]
	s_add_u32 s4, s4, _Z17bessel_j1_forwardIfET_S0_@rel32@lo+4
	s_addc_u32 s5, s5, _Z17bessel_j1_forwardIfET_S0_@rel32@hi+12
	s_swappc_b64 s[30:31], s[4:5]
	v_add_u32_e32 v41, s38, v41
	v_ashrrev_i32_e32 v1, 31, v41
	v_mov_b32_e32 v3, s37
	v_add_co_u32_e32 v2, vcc, s36, v41
	v_addc_co_u32_e32 v3, vcc, v3, v1, vcc
	v_mov_b32_e32 v1, 11
	v_cmp_lt_i16_sdwa s[4:5], v44, v1 src0_sel:BYTE_0 src1_sel:DWORD
	s_and_b64 vcc, exec, s[4:5]
	s_cbranch_vccnz .LBB16_1796
; %bb.1790:
	v_mov_b32_e32 v1, 25
	v_cmp_gt_i16_sdwa s[4:5], v44, v1 src0_sel:BYTE_0 src1_sel:DWORD
	s_mov_b64 s[10:11], -1
	s_mov_b64 s[6:7], 0
	s_and_b64 vcc, exec, s[4:5]
	s_mov_b64 s[8:9], 0
	s_mov_b64 s[4:5], 0
	s_cbranch_vccz .LBB16_1832
; %bb.1791:
	v_mov_b32_e32 v1, 28
	v_cmp_gt_i16_sdwa s[4:5], v44, v1 src0_sel:BYTE_0 src1_sel:DWORD
	s_and_b64 vcc, exec, s[4:5]
	s_cbranch_vccz .LBB16_1797
; %bb.1792:
	v_mov_b32_e32 v1, 43
	v_cmp_gt_i16_sdwa s[4:5], v44, v1 src0_sel:BYTE_0 src1_sel:DWORD
	s_and_b64 vcc, exec, s[4:5]
	;; [unrolled: 5-line block ×3, first 2 shown]
	s_cbranch_vccz .LBB16_1804
; %bb.1794:
	v_mov_b32_e32 v1, 46
	v_cmp_eq_u16_sdwa s[8:9], v44, v1 src0_sel:BYTE_0 src1_sel:DWORD
	s_mov_b64 s[4:5], -1
	s_mov_b64 s[10:11], 0
	s_and_b64 vcc, exec, s[8:9]
	s_mov_b64 s[8:9], 0
	s_cbranch_vccz .LBB16_1805
; %bb.1795:
	v_bfe_u32 v1, v0, 16, 1
	s_movk_i32 s4, 0x7fff
	v_add3_u32 v1, v0, v1, s4
	v_lshrrev_b32_e32 v1, 16, v1
	v_mov_b32_e32 v4, 0x7fc0
	v_cmp_o_f32_e32 vcc, v0, v0
	v_cndmask_b32_e32 v1, v4, v1, vcc
	global_store_dword v[2:3], v1, off
	s_mov_b64 s[4:5], 0
	s_mov_b64 s[8:9], -1
	s_branch .LBB16_1805
.LBB16_1796:
	s_mov_b64 s[4:5], -1
	s_mov_b64 s[8:9], 0
	s_branch .LBB16_1876
.LBB16_1797:
	s_mov_b64 s[4:5], 0
	s_branch .LBB16_1815
.LBB16_1798:
	s_or_saveexec_b64 s[12:13], s[12:13]
                                        ; implicit-def: $sgpr14
	s_xor_b64 exec, exec, s[12:13]
	s_cbranch_execz .LBB16_1699
.LBB16_1799:
	s_mov_b32 s14, 0x46000000
	v_add_f32_e64 v1, |v0|, s14
	v_and_b32_e32 v1, 0xff, v1
	v_cmp_ne_u32_e32 vcc, 0, v1
	s_andn2_b64 s[10:11], s[10:11], exec
	s_and_b64 s[16:17], vcc, exec
	s_mov_b32 s14, 0
	s_or_b64 s[10:11], s[10:11], s[16:17]
	s_or_b64 exec, exec, s[12:13]
	v_mov_b32_e32 v4, s14
	s_and_saveexec_b64 s[12:13], s[10:11]
	s_cbranch_execnz .LBB16_1700
	s_branch .LBB16_1701
.LBB16_1800:
	s_mov_b64 s[4:5], 0
	s_branch .LBB16_1811
.LBB16_1801:
	s_trap 2
	s_or_b64 s[48:49], s[48:49], exec
	s_cbranch_execz .LBB16_1747
	s_branch .LBB16_1748
.LBB16_1802:
	s_or_saveexec_b64 s[10:11], s[10:11]
                                        ; implicit-def: $sgpr12
	s_xor_b64 exec, exec, s[10:11]
	s_cbranch_execz .LBB16_1712
.LBB16_1803:
	s_mov_b32 s12, 0x42800000
	v_add_f32_e64 v1, |v0|, s12
	v_and_b32_e32 v1, 0xff, v1
	v_cmp_ne_u32_e32 vcc, 0, v1
	s_andn2_b64 s[8:9], s[8:9], exec
	s_and_b64 s[14:15], vcc, exec
	s_mov_b32 s12, 0
	s_or_b64 s[8:9], s[8:9], s[14:15]
	s_or_b64 exec, exec, s[10:11]
	v_mov_b32_e32 v4, s12
	s_and_saveexec_b64 s[10:11], s[8:9]
	s_cbranch_execnz .LBB16_1713
	s_branch .LBB16_1714
.LBB16_1804:
	s_mov_b64 s[4:5], 0
.LBB16_1805:
	s_and_b64 vcc, exec, s[10:11]
	s_cbranch_vccz .LBB16_1810
; %bb.1806:
	v_mov_b32_e32 v1, 44
	v_cmp_eq_u16_sdwa s[10:11], v44, v1 src0_sel:BYTE_0 src1_sel:DWORD
	s_mov_b64 s[4:5], -1
	s_and_b64 vcc, exec, s[10:11]
	s_cbranch_vccz .LBB16_1810
; %bb.1807:
	v_bfe_u32 v1, v0, 23, 8
	s_movk_i32 s4, 0xff
	v_cmp_ne_u32_e32 vcc, s4, v1
	v_mov_b32_e32 v4, 0xff
	s_and_saveexec_b64 s[8:9], vcc
; %bb.1808:
	s_mov_b32 s4, 0x3fffff
	v_and_b32_e32 v5, 0x400000, v0
	v_and_or_b32 v1, v0, s4, v1
	v_cmp_ne_u32_e32 vcc, 0, v5
	v_cmp_ne_u32_e64 s[4:5], 0, v1
	s_and_b64 s[4:5], vcc, s[4:5]
	v_lshrrev_b32_e32 v4, 23, v0
	v_cndmask_b32_e64 v1, 0, 1, s[4:5]
	v_add_u32_e32 v4, v4, v1
; %bb.1809:
	s_or_b64 exec, exec, s[8:9]
	s_mov_b64 s[4:5], 0
	s_mov_b64 s[8:9], -1
	global_store_byte v[2:3], v4, off
.LBB16_1810:
	s_mov_b64 s[10:11], 0
.LBB16_1811:
	s_and_b64 vcc, exec, s[10:11]
	s_cbranch_vccz .LBB16_1814
; %bb.1812:
	v_mov_b32_e32 v1, 29
	v_cmp_eq_u16_sdwa s[10:11], v44, v1 src0_sel:BYTE_0 src1_sel:DWORD
	s_mov_b64 s[4:5], -1
	s_and_b64 vcc, exec, s[10:11]
	s_cbranch_vccz .LBB16_1814
; %bb.1813:
	v_trunc_f32_e32 v1, v0
	v_mul_f32_e32 v4, 0x2f800000, v1
	v_floor_f32_e32 v4, v4
	v_fmac_f32_e32 v1, 0xcf800000, v4
	v_cvt_u32_f32_e32 v5, v4
	v_cvt_u32_f32_e32 v4, v1
	s_mov_b64 s[4:5], 0
	s_mov_b64 s[8:9], -1
	s_mov_b64 s[10:11], 0
	global_store_dwordx2 v[2:3], v[4:5], off
	s_branch .LBB16_1815
.LBB16_1814:
	s_mov_b64 s[10:11], 0
.LBB16_1815:
	s_and_b64 vcc, exec, s[10:11]
	s_cbranch_vccz .LBB16_1831
; %bb.1816:
	v_mov_b32_e32 v1, 27
	v_cmp_lt_i16_sdwa s[10:11], v44, v1 src0_sel:BYTE_0 src1_sel:DWORD
	s_mov_b64 s[8:9], -1
	s_and_b64 vcc, exec, s[10:11]
	s_cbranch_vccnz .LBB16_1822
; %bb.1817:
	v_cmp_gt_i16_sdwa s[10:11], v44, v1 src0_sel:BYTE_0 src1_sel:DWORD
	v_cvt_u32_f32_e32 v1, v0
	s_and_b64 vcc, exec, s[10:11]
	s_cbranch_vccz .LBB16_1819
; %bb.1818:
	s_mov_b64 s[8:9], 0
	global_store_dword v[2:3], v1, off
.LBB16_1819:
	s_andn2_b64 vcc, exec, s[8:9]
	s_cbranch_vccnz .LBB16_1821
; %bb.1820:
	global_store_short v[2:3], v1, off
.LBB16_1821:
	s_mov_b64 s[8:9], 0
.LBB16_1822:
	s_andn2_b64 vcc, exec, s[8:9]
	s_cbranch_vccnz .LBB16_1830
; %bb.1823:
	v_and_b32_e32 v1, 0x7fffffff, v0
	s_mov_b32 s8, 0x43800000
	v_cmp_gt_u32_e32 vcc, s8, v1
	v_mov_b32_e32 v4, 0x80
	s_and_saveexec_b64 s[8:9], vcc
	s_cbranch_execz .LBB16_1829
; %bb.1824:
	s_mov_b32 s10, 0x3bffffff
	v_cmp_lt_u32_e32 vcc, s10, v1
	s_mov_b64 s[10:11], 0
                                        ; implicit-def: $vgpr1
	s_and_saveexec_b64 s[12:13], vcc
	s_xor_b64 s[12:13], exec, s[12:13]
	s_cbranch_execz .LBB16_2038
; %bb.1825:
	v_bfe_u32 v1, v0, 20, 1
	s_mov_b32 s14, 0x487ffff
	v_add3_u32 v1, v0, v1, s14
	s_mov_b64 s[10:11], exec
	v_lshrrev_b32_e32 v1, 20, v1
	s_or_saveexec_b64 s[12:13], s[12:13]
                                        ; implicit-def: $sgpr14
	s_xor_b64 exec, exec, s[12:13]
	s_cbranch_execnz .LBB16_2039
.LBB16_1826:
	s_or_b64 exec, exec, s[12:13]
	v_mov_b32_e32 v4, s14
	s_and_saveexec_b64 s[12:13], s[10:11]
.LBB16_1827:
	v_lshrrev_b32_e32 v4, 24, v0
	s_movk_i32 s10, 0x80
	v_and_or_b32 v4, v4, s10, v1
.LBB16_1828:
	s_or_b64 exec, exec, s[12:13]
.LBB16_1829:
	s_or_b64 exec, exec, s[8:9]
	global_store_byte v[2:3], v4, off
.LBB16_1830:
	s_mov_b64 s[8:9], -1
.LBB16_1831:
	s_mov_b64 s[10:11], 0
.LBB16_1832:
	s_and_b64 vcc, exec, s[10:11]
	s_cbranch_vccz .LBB16_1872
; %bb.1833:
	v_mov_b32_e32 v1, 22
	v_cmp_gt_i16_sdwa s[10:11], v44, v1 src0_sel:BYTE_0 src1_sel:DWORD
	s_mov_b64 s[6:7], -1
	s_and_b64 vcc, exec, s[10:11]
	s_cbranch_vccz .LBB16_1865
; %bb.1834:
	v_mov_b32_e32 v1, 24
	v_cmp_lt_i16_sdwa s[8:9], v44, v1 src0_sel:BYTE_0 src1_sel:DWORD
	s_and_b64 vcc, exec, s[8:9]
	s_cbranch_vccnz .LBB16_1854
; %bb.1835:
	v_cmp_gt_i16_sdwa s[8:9], v44, v1 src0_sel:BYTE_0 src1_sel:DWORD
	s_and_b64 vcc, exec, s[8:9]
	s_cbranch_vccz .LBB16_1843
; %bb.1836:
	v_and_b32_e32 v1, 0x7fffffff, v0
	s_mov_b32 s6, 0x47800000
	v_cmp_gt_u32_e32 vcc, s6, v1
	v_mov_b32_e32 v4, 0x80
	s_and_saveexec_b64 s[6:7], vcc
	s_cbranch_execz .LBB16_1842
; %bb.1837:
	s_mov_b32 s8, 0x37ffffff
	v_cmp_lt_u32_e32 vcc, s8, v1
	s_mov_b64 s[8:9], 0
                                        ; implicit-def: $vgpr1
	s_and_saveexec_b64 s[10:11], vcc
	s_xor_b64 s[10:11], exec, s[10:11]
	s_cbranch_execz .LBB16_2041
; %bb.1838:
	v_bfe_u32 v1, v0, 21, 1
	s_mov_b32 s12, 0x88fffff
	v_add3_u32 v1, v0, v1, s12
	s_mov_b64 s[8:9], exec
	v_lshrrev_b32_e32 v1, 21, v1
	s_or_saveexec_b64 s[10:11], s[10:11]
                                        ; implicit-def: $sgpr12
	s_xor_b64 exec, exec, s[10:11]
	s_cbranch_execnz .LBB16_2042
.LBB16_1839:
	s_or_b64 exec, exec, s[10:11]
	v_mov_b32_e32 v4, s12
	s_and_saveexec_b64 s[10:11], s[8:9]
.LBB16_1840:
	v_lshrrev_b32_e32 v4, 24, v0
	s_movk_i32 s8, 0x80
	v_and_or_b32 v4, v4, s8, v1
.LBB16_1841:
	s_or_b64 exec, exec, s[10:11]
.LBB16_1842:
	s_or_b64 exec, exec, s[6:7]
	s_mov_b64 s[6:7], 0
	global_store_byte v[2:3], v4, off
.LBB16_1843:
	s_and_b64 vcc, exec, s[6:7]
	s_cbranch_vccz .LBB16_1853
; %bb.1844:
	v_and_b32_e32 v4, 0x7fffffff, v0
	s_mov_b32 s6, 0x43f00000
	v_cmp_gt_u32_e32 vcc, s6, v4
                                        ; implicit-def: $vgpr1
	s_and_saveexec_b64 s[6:7], vcc
	s_xor_b64 s[6:7], exec, s[6:7]
	s_cbranch_execz .LBB16_1850
; %bb.1845:
	s_mov_b32 s8, 0x3c7fffff
	v_cmp_lt_u32_e32 vcc, s8, v4
                                        ; implicit-def: $vgpr1
	s_and_saveexec_b64 s[8:9], vcc
	s_xor_b64 s[8:9], exec, s[8:9]
; %bb.1846:
	v_bfe_u32 v1, v0, 20, 1
	s_mov_b32 s10, 0x407ffff
	v_add3_u32 v1, v0, v1, s10
	v_lshrrev_b32_e32 v4, 20, v1
	v_and_b32_e32 v1, 0xff00000, v1
	s_mov_b32 s10, 0x7f00000
	v_mov_b32_e32 v5, 0x7e
	v_cmp_ne_u32_e32 vcc, s10, v1
	v_cndmask_b32_e32 v1, v5, v4, vcc
; %bb.1847:
	s_andn2_saveexec_b64 s[8:9], s[8:9]
; %bb.1848:
	s_mov_b32 s10, 0x46800000
	v_add_f32_e64 v1, |v0|, s10
; %bb.1849:
	s_or_b64 exec, exec, s[8:9]
                                        ; implicit-def: $vgpr4
.LBB16_1850:
	s_andn2_saveexec_b64 s[6:7], s[6:7]
; %bb.1851:
	s_mov_b32 s8, 0x7f800000
	v_mov_b32_e32 v1, 0x7e
	v_mov_b32_e32 v5, 0x7f
	v_cmp_lt_u32_e32 vcc, s8, v4
	v_cndmask_b32_e32 v1, v1, v5, vcc
; %bb.1852:
	s_or_b64 exec, exec, s[6:7]
	v_lshrrev_b32_e32 v4, 24, v0
	s_movk_i32 s6, 0x80
	v_and_or_b32 v1, v4, s6, v1
	global_store_byte v[2:3], v1, off
.LBB16_1853:
	s_mov_b64 s[6:7], 0
.LBB16_1854:
	s_andn2_b64 vcc, exec, s[6:7]
	s_cbranch_vccnz .LBB16_1864
; %bb.1855:
	v_and_b32_e32 v4, 0x7fffffff, v0
	s_mov_b32 s6, 0x47800000
	v_cmp_gt_u32_e32 vcc, s6, v4
                                        ; implicit-def: $vgpr1
	s_and_saveexec_b64 s[6:7], vcc
	s_xor_b64 s[6:7], exec, s[6:7]
	s_cbranch_execz .LBB16_1861
; %bb.1856:
	s_mov_b32 s8, 0x387fffff
	v_cmp_lt_u32_e32 vcc, s8, v4
                                        ; implicit-def: $vgpr1
	s_and_saveexec_b64 s[8:9], vcc
	s_xor_b64 s[8:9], exec, s[8:9]
; %bb.1857:
	v_bfe_u32 v1, v0, 21, 1
	s_mov_b32 s10, 0x80fffff
	v_add3_u32 v1, v0, v1, s10
	v_lshrrev_b32_e32 v1, 21, v1
; %bb.1858:
	s_andn2_saveexec_b64 s[8:9], s[8:9]
; %bb.1859:
	s_mov_b32 s10, 0x43000000
	v_add_f32_e64 v1, |v0|, s10
; %bb.1860:
	s_or_b64 exec, exec, s[8:9]
                                        ; implicit-def: $vgpr4
.LBB16_1861:
	s_andn2_saveexec_b64 s[6:7], s[6:7]
; %bb.1862:
	s_mov_b32 s8, 0x7f800000
	v_mov_b32_e32 v1, 0x7c
	v_mov_b32_e32 v5, 0x7f
	v_cmp_lt_u32_e32 vcc, s8, v4
	v_cndmask_b32_e32 v1, v1, v5, vcc
; %bb.1863:
	s_or_b64 exec, exec, s[6:7]
	v_lshrrev_b32_e32 v4, 24, v0
	s_movk_i32 s6, 0x80
	v_and_or_b32 v1, v4, s6, v1
	global_store_byte v[2:3], v1, off
.LBB16_1864:
	s_mov_b64 s[6:7], 0
	s_mov_b64 s[8:9], -1
.LBB16_1865:
	s_andn2_b64 vcc, exec, s[6:7]
	s_mov_b64 s[6:7], 0
	s_cbranch_vccnz .LBB16_1872
; %bb.1866:
	v_mov_b32_e32 v1, 14
	v_cmp_gt_i16_sdwa s[6:7], v44, v1 src0_sel:BYTE_0 src1_sel:DWORD
	s_mov_b64 s[10:11], -1
	s_and_b64 vcc, exec, s[6:7]
	s_cbranch_vccz .LBB16_1870
; %bb.1867:
	v_mov_b32_e32 v1, 15
	v_cmp_eq_u16_sdwa s[6:7], v44, v1 src0_sel:BYTE_0 src1_sel:DWORD
	s_mov_b64 s[4:5], -1
	s_and_b64 vcc, exec, s[6:7]
	s_cbranch_vccz .LBB16_1869
; %bb.1868:
	v_bfe_u32 v1, v0, 16, 1
	s_movk_i32 s4, 0x7fff
	v_add3_u32 v1, v0, v1, s4
	v_lshrrev_b32_e32 v1, 16, v1
	v_mov_b32_e32 v4, 0x7fc0
	v_cmp_o_f32_e32 vcc, v0, v0
	v_cndmask_b32_e32 v1, v4, v1, vcc
	global_store_short v[2:3], v1, off
	s_mov_b64 s[4:5], 0
	s_mov_b64 s[8:9], -1
.LBB16_1869:
	s_mov_b64 s[10:11], 0
.LBB16_1870:
	s_mov_b64 s[6:7], 0
	s_and_b64 vcc, exec, s[10:11]
	s_cbranch_vccz .LBB16_1872
; %bb.1871:
	v_mov_b32_e32 v1, 11
	v_cmp_ne_u16_sdwa s[4:5], v44, v1 src0_sel:BYTE_0 src1_sel:DWORD
	s_mov_b64 s[6:7], -1
.LBB16_1872:
	s_and_b64 vcc, exec, s[4:5]
	s_cbranch_vccnz .LBB16_2040
; %bb.1873:
	s_andn2_b64 vcc, exec, s[6:7]
	s_cbranch_vccnz .LBB16_1875
.LBB16_1874:
	v_cmp_neq_f32_e32 vcc, 0, v0
	v_cndmask_b32_e64 v1, 0, 1, vcc
	s_mov_b64 s[8:9], -1
	global_store_byte v[2:3], v1, off
.LBB16_1875:
	s_mov_b64 s[4:5], 0
.LBB16_1876:
	s_and_b64 vcc, exec, s[4:5]
	s_cbranch_vccz .LBB16_1915
; %bb.1877:
	v_mov_b32_e32 v1, 5
	v_cmp_lt_i16_sdwa s[6:7], v44, v1 src0_sel:BYTE_0 src1_sel:DWORD
	s_mov_b64 s[4:5], -1
	s_and_b64 vcc, exec, s[6:7]
	s_cbranch_vccnz .LBB16_1898
; %bb.1878:
	v_mov_b32_e32 v1, 8
	v_cmp_lt_i16_sdwa s[6:7], v44, v1 src0_sel:BYTE_0 src1_sel:DWORD
	s_and_b64 vcc, exec, s[6:7]
	s_cbranch_vccnz .LBB16_1888
; %bb.1879:
	v_mov_b32_e32 v1, 9
	v_cmp_lt_i16_sdwa s[6:7], v44, v1 src0_sel:BYTE_0 src1_sel:DWORD
	s_and_b64 vcc, exec, s[6:7]
	s_cbranch_vccnz .LBB16_1885
; %bb.1880:
	v_cmp_gt_i16_sdwa s[6:7], v44, v1 src0_sel:BYTE_0 src1_sel:DWORD
	s_and_b64 vcc, exec, s[6:7]
	s_cbranch_vccz .LBB16_1882
; %bb.1881:
	v_mov_b32_e32 v6, 0
	v_cvt_f64_f32_e32 v[4:5], v0
	v_mov_b32_e32 v7, v6
	global_store_dwordx4 v[2:3], v[4:7], off
	s_mov_b64 s[4:5], 0
.LBB16_1882:
	s_andn2_b64 vcc, exec, s[4:5]
	s_cbranch_vccnz .LBB16_1884
; %bb.1883:
	v_mov_b32_e32 v1, 0
	global_store_dwordx2 v[2:3], v[0:1], off
.LBB16_1884:
	s_mov_b64 s[4:5], 0
.LBB16_1885:
	s_andn2_b64 vcc, exec, s[4:5]
	s_cbranch_vccnz .LBB16_1887
; %bb.1886:
	v_cvt_f16_f32_e32 v1, v0
	global_store_dword v[2:3], v1, off
.LBB16_1887:
	s_mov_b64 s[4:5], 0
.LBB16_1888:
	s_andn2_b64 vcc, exec, s[4:5]
	s_cbranch_vccnz .LBB16_1897
; %bb.1889:
	v_mov_b32_e32 v1, 6
	v_cmp_lt_i16_sdwa s[6:7], v44, v1 src0_sel:BYTE_0 src1_sel:DWORD
	s_mov_b64 s[4:5], -1
	s_and_b64 vcc, exec, s[6:7]
	s_cbranch_vccnz .LBB16_1895
; %bb.1890:
	v_cmp_gt_i16_sdwa s[6:7], v44, v1 src0_sel:BYTE_0 src1_sel:DWORD
	s_and_b64 vcc, exec, s[6:7]
	s_cbranch_vccz .LBB16_1892
; %bb.1891:
	v_cvt_f64_f32_e32 v[4:5], v0
	global_store_dwordx2 v[2:3], v[4:5], off
	s_mov_b64 s[4:5], 0
.LBB16_1892:
	s_andn2_b64 vcc, exec, s[4:5]
	s_cbranch_vccnz .LBB16_1894
; %bb.1893:
	global_store_dword v[2:3], v0, off
.LBB16_1894:
	s_mov_b64 s[4:5], 0
.LBB16_1895:
	s_andn2_b64 vcc, exec, s[4:5]
	s_cbranch_vccnz .LBB16_1897
; %bb.1896:
	v_cvt_f16_f32_e32 v1, v0
	global_store_short v[2:3], v1, off
.LBB16_1897:
	s_mov_b64 s[4:5], 0
.LBB16_1898:
	s_andn2_b64 vcc, exec, s[4:5]
	s_cbranch_vccnz .LBB16_1914
; %bb.1899:
	v_mov_b32_e32 v1, 2
	v_cmp_lt_i16_sdwa s[6:7], v44, v1 src0_sel:BYTE_0 src1_sel:DWORD
	s_mov_b64 s[4:5], -1
	s_and_b64 vcc, exec, s[6:7]
	s_cbranch_vccnz .LBB16_1909
; %bb.1900:
	v_mov_b32_e32 v1, 3
	v_cmp_lt_i16_sdwa s[6:7], v44, v1 src0_sel:BYTE_0 src1_sel:DWORD
	s_and_b64 vcc, exec, s[6:7]
	s_cbranch_vccnz .LBB16_1906
; %bb.1901:
	v_cmp_gt_i16_sdwa s[6:7], v44, v1 src0_sel:BYTE_0 src1_sel:DWORD
	s_and_b64 vcc, exec, s[6:7]
	s_cbranch_vccz .LBB16_1903
; %bb.1902:
	v_trunc_f32_e32 v1, v0
	s_mov_b32 s4, 0x2f800000
	v_mul_f32_e64 v4, |v1|, s4
	v_floor_f32_e32 v4, v4
	s_mov_b32 s4, 0xcf800000
	v_cvt_u32_f32_e32 v5, v4
	v_fma_f32 v4, v4, s4, |v1|
	v_cvt_u32_f32_e32 v4, v4
	v_ashrrev_i32_e32 v1, 31, v1
	v_xor_b32_e32 v5, v5, v1
	s_mov_b64 s[4:5], 0
	v_xor_b32_e32 v4, v4, v1
	v_sub_co_u32_e32 v4, vcc, v4, v1
	v_subb_co_u32_e32 v5, vcc, v5, v1, vcc
	global_store_dwordx2 v[2:3], v[4:5], off
.LBB16_1903:
	s_andn2_b64 vcc, exec, s[4:5]
	s_cbranch_vccnz .LBB16_1905
; %bb.1904:
	v_cvt_i32_f32_e32 v1, v0
	global_store_dword v[2:3], v1, off
.LBB16_1905:
	s_mov_b64 s[4:5], 0
.LBB16_1906:
	s_andn2_b64 vcc, exec, s[4:5]
	s_cbranch_vccnz .LBB16_1908
; %bb.1907:
	v_cvt_i32_f32_e32 v1, v0
	global_store_short v[2:3], v1, off
.LBB16_1908:
	s_mov_b64 s[4:5], 0
.LBB16_1909:
	s_andn2_b64 vcc, exec, s[4:5]
	s_cbranch_vccnz .LBB16_1914
; %bb.1910:
	v_mov_b32_e32 v1, 0
	v_cmp_gt_i16_sdwa s[6:7], v44, v1 src0_sel:BYTE_0 src1_sel:DWORD
	s_mov_b64 s[4:5], -1
	s_and_b64 vcc, exec, s[6:7]
	s_cbranch_vccz .LBB16_1912
; %bb.1911:
	v_cvt_i32_f32_e32 v1, v0
	s_mov_b64 s[4:5], 0
	global_store_byte v[2:3], v1, off
.LBB16_1912:
	s_andn2_b64 vcc, exec, s[4:5]
	s_cbranch_vccnz .LBB16_1914
; %bb.1913:
	v_trunc_f32_e32 v0, v0
	s_mov_b32 s4, 0x2f800000
	v_mul_f32_e64 v1, |v0|, s4
	v_floor_f32_e32 v1, v1
	s_mov_b32 s4, 0xcf800000
	v_fma_f32 v1, v1, s4, |v0|
	v_cvt_u32_f32_e32 v1, v1
	v_ashrrev_i32_e32 v0, 31, v0
	v_xor_b32_e32 v1, v1, v0
	v_sub_u32_e32 v0, v1, v0
	global_store_byte v[2:3], v0, off
.LBB16_1914:
	s_mov_b64 s[8:9], -1
.LBB16_1915:
	s_andn2_b64 vcc, exec, s[8:9]
	s_cbranch_vccnz .LBB16_1992
; %bb.1916:
	v_mov_b32_e32 v0, v43
	s_getpc_b64 s[4:5]
	s_add_u32 s4, s4, _Z17bessel_j1_forwardIfET_S0_@rel32@lo+4
	s_addc_u32 s5, s5, _Z17bessel_j1_forwardIfET_S0_@rel32@hi+12
	s_swappc_b64 s[30:31], s[4:5]
	v_add_u32_e32 v1, s38, v41
	v_ashrrev_i32_e32 v3, 31, v1
	v_mov_b32_e32 v4, s37
	v_add_co_u32_e32 v2, vcc, s36, v1
	v_addc_co_u32_e32 v3, vcc, v4, v3, vcc
	v_and_b32_e32 v4, 0xff, v44
	v_cmp_gt_i16_e32 vcc, 11, v4
	s_cbranch_vccnz .LBB16_2037
; %bb.1917:
	v_cmp_lt_i16_e32 vcc, 25, v4
	s_mov_b64 s[8:9], -1
	s_mov_b64 s[6:7], 0
	s_mov_b64 s[4:5], 0
	s_cbranch_vccz .LBB16_1950
; %bb.1918:
	v_cmp_lt_i16_e32 vcc, 28, v4
	s_cbranch_vccz .LBB16_1934
; %bb.1919:
	v_cmp_lt_i16_e32 vcc, 43, v4
	;; [unrolled: 3-line block ×3, first 2 shown]
	s_cbranch_vccz .LBB16_1924
; %bb.1921:
	v_cmp_eq_u16_e32 vcc, 46, v4
	s_mov_b64 s[4:5], -1
	s_cbranch_vccz .LBB16_1923
; %bb.1922:
	v_bfe_u32 v1, v0, 16, 1
	s_movk_i32 s4, 0x7fff
	v_add3_u32 v1, v0, v1, s4
	v_lshrrev_b32_e32 v1, 16, v1
	v_mov_b32_e32 v5, 0x7fc0
	v_cmp_o_f32_e32 vcc, v0, v0
	v_cndmask_b32_e32 v1, v5, v1, vcc
	global_store_dword v[2:3], v1, off
	s_mov_b64 s[4:5], 0
.LBB16_1923:
	s_mov_b64 s[8:9], 0
.LBB16_1924:
	s_and_b64 vcc, exec, s[8:9]
	s_cbranch_vccz .LBB16_1929
; %bb.1925:
	v_cmp_eq_u16_e32 vcc, 44, v4
	s_mov_b64 s[4:5], -1
	s_cbranch_vccz .LBB16_1929
; %bb.1926:
	v_bfe_u32 v1, v0, 23, 8
	s_movk_i32 s4, 0xff
	v_cmp_ne_u32_e32 vcc, s4, v1
	v_mov_b32_e32 v5, 0xff
	s_and_saveexec_b64 s[8:9], vcc
; %bb.1927:
	s_mov_b32 s4, 0x3fffff
	v_and_b32_e32 v6, 0x400000, v0
	v_and_or_b32 v1, v0, s4, v1
	v_cmp_ne_u32_e32 vcc, 0, v6
	v_cmp_ne_u32_e64 s[4:5], 0, v1
	s_and_b64 s[4:5], vcc, s[4:5]
	v_lshrrev_b32_e32 v5, 23, v0
	v_cndmask_b32_e64 v1, 0, 1, s[4:5]
	v_add_u32_e32 v5, v5, v1
; %bb.1928:
	s_or_b64 exec, exec, s[8:9]
	s_mov_b64 s[4:5], 0
	global_store_byte v[2:3], v5, off
.LBB16_1929:
	s_mov_b64 s[8:9], 0
.LBB16_1930:
	s_and_b64 vcc, exec, s[8:9]
	s_cbranch_vccz .LBB16_1933
; %bb.1931:
	v_cmp_eq_u16_e32 vcc, 29, v4
	s_mov_b64 s[4:5], -1
	s_cbranch_vccz .LBB16_1933
; %bb.1932:
	v_trunc_f32_e32 v1, v0
	v_mul_f32_e32 v5, 0x2f800000, v1
	v_floor_f32_e32 v5, v5
	v_fmac_f32_e32 v1, 0xcf800000, v5
	v_cvt_u32_f32_e32 v7, v5
	v_cvt_u32_f32_e32 v6, v1
	s_mov_b64 s[4:5], 0
	global_store_dwordx2 v[2:3], v[6:7], off
.LBB16_1933:
	s_mov_b64 s[8:9], 0
.LBB16_1934:
	s_and_b64 vcc, exec, s[8:9]
	s_cbranch_vccz .LBB16_1949
; %bb.1935:
	v_cmp_gt_i16_e32 vcc, 27, v4
	s_mov_b64 s[8:9], -1
	s_cbranch_vccnz .LBB16_1941
; %bb.1936:
	v_cvt_u32_f32_e32 v1, v0
	v_cmp_lt_i16_e32 vcc, 27, v4
	s_cbranch_vccz .LBB16_1938
; %bb.1937:
	global_store_dword v[2:3], v1, off
	s_mov_b64 s[8:9], 0
.LBB16_1938:
	s_andn2_b64 vcc, exec, s[8:9]
	s_cbranch_vccnz .LBB16_1940
; %bb.1939:
	global_store_short v[2:3], v1, off
.LBB16_1940:
	s_mov_b64 s[8:9], 0
.LBB16_1941:
	s_andn2_b64 vcc, exec, s[8:9]
	s_cbranch_vccnz .LBB16_1949
; %bb.1942:
	v_and_b32_e32 v1, 0x7fffffff, v0
	s_mov_b32 s8, 0x43800000
	v_cmp_gt_u32_e32 vcc, s8, v1
	v_mov_b32_e32 v5, 0x80
	s_and_saveexec_b64 s[8:9], vcc
	s_cbranch_execz .LBB16_1948
; %bb.1943:
	s_mov_b32 s10, 0x3bffffff
	v_cmp_lt_u32_e32 vcc, s10, v1
	s_mov_b64 s[10:11], 0
                                        ; implicit-def: $vgpr1
	s_and_saveexec_b64 s[12:13], vcc
	s_xor_b64 s[12:13], exec, s[12:13]
	s_cbranch_execz .LBB16_2043
; %bb.1944:
	v_bfe_u32 v1, v0, 20, 1
	s_mov_b32 s14, 0x487ffff
	v_add3_u32 v1, v0, v1, s14
	s_mov_b64 s[10:11], exec
	v_lshrrev_b32_e32 v1, 20, v1
	s_or_saveexec_b64 s[12:13], s[12:13]
                                        ; implicit-def: $sgpr14
	s_xor_b64 exec, exec, s[12:13]
	s_cbranch_execnz .LBB16_2044
.LBB16_1945:
	s_or_b64 exec, exec, s[12:13]
	v_mov_b32_e32 v5, s14
	s_and_saveexec_b64 s[12:13], s[10:11]
.LBB16_1946:
	v_lshrrev_b32_e32 v5, 24, v0
	s_movk_i32 s10, 0x80
	v_and_or_b32 v5, v5, s10, v1
.LBB16_1947:
	s_or_b64 exec, exec, s[12:13]
.LBB16_1948:
	s_or_b64 exec, exec, s[8:9]
	global_store_byte v[2:3], v5, off
.LBB16_1949:
	s_mov_b64 s[8:9], 0
.LBB16_1950:
	s_and_b64 vcc, exec, s[8:9]
	s_cbranch_vccz .LBB16_1990
; %bb.1951:
	v_cmp_lt_i16_e32 vcc, 22, v4
	s_mov_b64 s[6:7], -1
	s_cbranch_vccz .LBB16_1983
; %bb.1952:
	v_cmp_gt_i16_e32 vcc, 24, v4
	s_cbranch_vccnz .LBB16_1972
; %bb.1953:
	v_cmp_lt_i16_e32 vcc, 24, v4
	s_cbranch_vccz .LBB16_1961
; %bb.1954:
	v_and_b32_e32 v1, 0x7fffffff, v0
	s_mov_b32 s6, 0x47800000
	v_cmp_gt_u32_e32 vcc, s6, v1
	v_mov_b32_e32 v5, 0x80
	s_and_saveexec_b64 s[6:7], vcc
	s_cbranch_execz .LBB16_1960
; %bb.1955:
	s_mov_b32 s8, 0x37ffffff
	v_cmp_lt_u32_e32 vcc, s8, v1
	s_mov_b64 s[8:9], 0
                                        ; implicit-def: $vgpr1
	s_and_saveexec_b64 s[10:11], vcc
	s_xor_b64 s[10:11], exec, s[10:11]
	s_cbranch_execz .LBB16_2046
; %bb.1956:
	v_bfe_u32 v1, v0, 21, 1
	s_mov_b32 s12, 0x88fffff
	v_add3_u32 v1, v0, v1, s12
	s_mov_b64 s[8:9], exec
	v_lshrrev_b32_e32 v1, 21, v1
	s_or_saveexec_b64 s[10:11], s[10:11]
                                        ; implicit-def: $sgpr12
	s_xor_b64 exec, exec, s[10:11]
	s_cbranch_execnz .LBB16_2047
.LBB16_1957:
	s_or_b64 exec, exec, s[10:11]
	v_mov_b32_e32 v5, s12
	s_and_saveexec_b64 s[10:11], s[8:9]
.LBB16_1958:
	v_lshrrev_b32_e32 v5, 24, v0
	s_movk_i32 s8, 0x80
	v_and_or_b32 v5, v5, s8, v1
.LBB16_1959:
	s_or_b64 exec, exec, s[10:11]
.LBB16_1960:
	s_or_b64 exec, exec, s[6:7]
	s_mov_b64 s[6:7], 0
	global_store_byte v[2:3], v5, off
.LBB16_1961:
	s_and_b64 vcc, exec, s[6:7]
	s_cbranch_vccz .LBB16_1971
; %bb.1962:
	v_and_b32_e32 v5, 0x7fffffff, v0
	s_mov_b32 s6, 0x43f00000
	v_cmp_gt_u32_e32 vcc, s6, v5
                                        ; implicit-def: $vgpr1
	s_and_saveexec_b64 s[6:7], vcc
	s_xor_b64 s[6:7], exec, s[6:7]
	s_cbranch_execz .LBB16_1968
; %bb.1963:
	s_mov_b32 s8, 0x3c7fffff
	v_cmp_lt_u32_e32 vcc, s8, v5
                                        ; implicit-def: $vgpr1
	s_and_saveexec_b64 s[8:9], vcc
	s_xor_b64 s[8:9], exec, s[8:9]
; %bb.1964:
	v_bfe_u32 v1, v0, 20, 1
	s_mov_b32 s10, 0x407ffff
	v_add3_u32 v1, v0, v1, s10
	v_lshrrev_b32_e32 v5, 20, v1
	v_and_b32_e32 v1, 0xff00000, v1
	s_mov_b32 s10, 0x7f00000
	v_mov_b32_e32 v6, 0x7e
	v_cmp_ne_u32_e32 vcc, s10, v1
	v_cndmask_b32_e32 v1, v6, v5, vcc
; %bb.1965:
	s_andn2_saveexec_b64 s[8:9], s[8:9]
; %bb.1966:
	s_mov_b32 s10, 0x46800000
	v_add_f32_e64 v1, |v0|, s10
; %bb.1967:
	s_or_b64 exec, exec, s[8:9]
                                        ; implicit-def: $vgpr5
.LBB16_1968:
	s_andn2_saveexec_b64 s[6:7], s[6:7]
; %bb.1969:
	s_mov_b32 s8, 0x7f800000
	v_mov_b32_e32 v1, 0x7e
	v_mov_b32_e32 v6, 0x7f
	v_cmp_lt_u32_e32 vcc, s8, v5
	v_cndmask_b32_e32 v1, v1, v6, vcc
; %bb.1970:
	s_or_b64 exec, exec, s[6:7]
	v_lshrrev_b32_e32 v5, 24, v0
	s_movk_i32 s6, 0x80
	v_and_or_b32 v1, v5, s6, v1
	global_store_byte v[2:3], v1, off
.LBB16_1971:
	s_mov_b64 s[6:7], 0
.LBB16_1972:
	s_andn2_b64 vcc, exec, s[6:7]
	s_cbranch_vccnz .LBB16_1982
; %bb.1973:
	v_and_b32_e32 v5, 0x7fffffff, v0
	s_mov_b32 s6, 0x47800000
	v_cmp_gt_u32_e32 vcc, s6, v5
                                        ; implicit-def: $vgpr1
	s_and_saveexec_b64 s[6:7], vcc
	s_xor_b64 s[6:7], exec, s[6:7]
	s_cbranch_execz .LBB16_1979
; %bb.1974:
	s_mov_b32 s8, 0x387fffff
	v_cmp_lt_u32_e32 vcc, s8, v5
                                        ; implicit-def: $vgpr1
	s_and_saveexec_b64 s[8:9], vcc
	s_xor_b64 s[8:9], exec, s[8:9]
; %bb.1975:
	v_bfe_u32 v1, v0, 21, 1
	s_mov_b32 s10, 0x80fffff
	v_add3_u32 v1, v0, v1, s10
	v_lshrrev_b32_e32 v1, 21, v1
; %bb.1976:
	s_andn2_saveexec_b64 s[8:9], s[8:9]
; %bb.1977:
	s_mov_b32 s10, 0x43000000
	v_add_f32_e64 v1, |v0|, s10
; %bb.1978:
	s_or_b64 exec, exec, s[8:9]
                                        ; implicit-def: $vgpr5
.LBB16_1979:
	s_andn2_saveexec_b64 s[6:7], s[6:7]
; %bb.1980:
	s_mov_b32 s8, 0x7f800000
	v_mov_b32_e32 v1, 0x7c
	v_mov_b32_e32 v6, 0x7f
	v_cmp_lt_u32_e32 vcc, s8, v5
	v_cndmask_b32_e32 v1, v1, v6, vcc
; %bb.1981:
	s_or_b64 exec, exec, s[6:7]
	v_lshrrev_b32_e32 v5, 24, v0
	s_movk_i32 s6, 0x80
	v_and_or_b32 v1, v5, s6, v1
	global_store_byte v[2:3], v1, off
.LBB16_1982:
	s_mov_b64 s[6:7], 0
.LBB16_1983:
	s_andn2_b64 vcc, exec, s[6:7]
	s_mov_b64 s[6:7], 0
	s_cbranch_vccnz .LBB16_1990
; %bb.1984:
	v_cmp_lt_i16_e32 vcc, 14, v4
	s_mov_b64 s[8:9], -1
	s_cbranch_vccz .LBB16_1988
; %bb.1985:
	v_cmp_eq_u16_e32 vcc, 15, v4
	s_mov_b64 s[4:5], -1
	s_cbranch_vccz .LBB16_1987
; %bb.1986:
	v_bfe_u32 v1, v0, 16, 1
	s_movk_i32 s4, 0x7fff
	v_add3_u32 v1, v0, v1, s4
	v_lshrrev_b32_e32 v1, 16, v1
	v_mov_b32_e32 v5, 0x7fc0
	v_cmp_o_f32_e32 vcc, v0, v0
	v_cndmask_b32_e32 v1, v5, v1, vcc
	global_store_short v[2:3], v1, off
	s_mov_b64 s[4:5], 0
.LBB16_1987:
	s_mov_b64 s[8:9], 0
.LBB16_1988:
	s_and_b64 vcc, exec, s[8:9]
	s_cbranch_vccz .LBB16_1990
; %bb.1989:
	v_cmp_ne_u16_e64 s[4:5], 11, v4
	s_mov_b64 s[6:7], -1
.LBB16_1990:
	s_and_b64 vcc, exec, s[4:5]
	s_cbranch_vccnz .LBB16_2045
.LBB16_1991:
	s_mov_b64 s[4:5], 0
	s_branch .LBB16_1993
.LBB16_1992:
	s_mov_b64 s[4:5], 0
	s_mov_b64 s[6:7], 0
                                        ; implicit-def: $vgpr4
                                        ; implicit-def: $vgpr2_vgpr3
                                        ; implicit-def: $vgpr0
.LBB16_1993:
	s_and_b64 s[42:43], s[6:7], exec
	s_andn2_b64 s[6:7], s[46:47], exec
	s_and_b64 s[8:9], s[48:49], exec
	s_and_b64 s[4:5], s[4:5], exec
	s_or_b64 s[46:47], s[6:7], s[8:9]
.LBB16_1994:
	s_or_b64 exec, exec, s[44:45]
	s_and_saveexec_b64 s[6:7], s[46:47]
	s_cbranch_execz .LBB16_1997
; %bb.1995:
	; divergent unreachable
	s_or_b64 exec, exec, s[6:7]
	s_and_saveexec_b64 s[6:7], s[42:43]
	s_xor_b64 s[6:7], exec, s[6:7]
	s_cbranch_execnz .LBB16_1998
.LBB16_1996:
	s_or_b64 exec, exec, s[6:7]
	s_and_saveexec_b64 s[6:7], s[4:5]
	s_cbranch_execnz .LBB16_1999
	s_branch .LBB16_2036
.LBB16_1997:
	s_or_b64 exec, exec, s[6:7]
	s_and_saveexec_b64 s[6:7], s[42:43]
	s_xor_b64 s[6:7], exec, s[6:7]
	s_cbranch_execz .LBB16_1996
.LBB16_1998:
	s_waitcnt vmcnt(0)
	v_cmp_neq_f32_e32 vcc, 0, v0
	v_cndmask_b32_e64 v1, 0, 1, vcc
	global_store_byte v[2:3], v1, off
	s_or_b64 exec, exec, s[6:7]
	s_and_saveexec_b64 s[6:7], s[4:5]
	s_cbranch_execz .LBB16_2036
.LBB16_1999:
	v_cmp_gt_i16_e32 vcc, 5, v4
	s_mov_b64 s[4:5], -1
	s_cbranch_vccnz .LBB16_2020
; %bb.2000:
	v_cmp_gt_i16_e32 vcc, 8, v4
	s_cbranch_vccnz .LBB16_2010
; %bb.2001:
	v_cmp_gt_i16_e32 vcc, 9, v4
	s_cbranch_vccnz .LBB16_2007
; %bb.2002:
	v_cmp_lt_i16_e32 vcc, 9, v4
	s_cbranch_vccz .LBB16_2004
; %bb.2003:
	v_mov_b32_e32 v8, 0
	s_waitcnt vmcnt(0)
	v_cvt_f64_f32_e32 v[6:7], v0
	v_mov_b32_e32 v9, v8
	global_store_dwordx4 v[2:3], v[6:9], off
	s_mov_b64 s[4:5], 0
.LBB16_2004:
	s_andn2_b64 vcc, exec, s[4:5]
	s_cbranch_vccnz .LBB16_2006
; %bb.2005:
	s_waitcnt vmcnt(0)
	v_mov_b32_e32 v1, 0
	global_store_dwordx2 v[2:3], v[0:1], off
.LBB16_2006:
	s_mov_b64 s[4:5], 0
.LBB16_2007:
	s_andn2_b64 vcc, exec, s[4:5]
	s_cbranch_vccnz .LBB16_2009
; %bb.2008:
	s_waitcnt vmcnt(0)
	v_cvt_f16_f32_e32 v1, v0
	global_store_dword v[2:3], v1, off
.LBB16_2009:
	s_mov_b64 s[4:5], 0
.LBB16_2010:
	s_andn2_b64 vcc, exec, s[4:5]
	s_cbranch_vccnz .LBB16_2019
; %bb.2011:
	v_cmp_gt_i16_e32 vcc, 6, v4
	s_mov_b64 s[4:5], -1
	s_cbranch_vccnz .LBB16_2017
; %bb.2012:
	v_cmp_lt_i16_e32 vcc, 6, v4
	s_cbranch_vccz .LBB16_2014
; %bb.2013:
	s_waitcnt vmcnt(0)
	v_cvt_f64_f32_e32 v[6:7], v0
	global_store_dwordx2 v[2:3], v[6:7], off
	s_mov_b64 s[4:5], 0
.LBB16_2014:
	s_andn2_b64 vcc, exec, s[4:5]
	s_cbranch_vccnz .LBB16_2016
; %bb.2015:
	s_waitcnt vmcnt(0)
	global_store_dword v[2:3], v0, off
.LBB16_2016:
	s_mov_b64 s[4:5], 0
.LBB16_2017:
	s_andn2_b64 vcc, exec, s[4:5]
	s_cbranch_vccnz .LBB16_2019
; %bb.2018:
	s_waitcnt vmcnt(0)
	v_cvt_f16_f32_e32 v1, v0
	global_store_short v[2:3], v1, off
.LBB16_2019:
	s_mov_b64 s[4:5], 0
.LBB16_2020:
	s_andn2_b64 vcc, exec, s[4:5]
	s_cbranch_vccnz .LBB16_2036
; %bb.2021:
	v_cmp_gt_i16_e32 vcc, 2, v4
	s_mov_b64 s[4:5], -1
	s_cbranch_vccnz .LBB16_2031
; %bb.2022:
	v_cmp_gt_i16_e32 vcc, 3, v4
	s_cbranch_vccnz .LBB16_2028
; %bb.2023:
	v_cmp_lt_i16_e32 vcc, 3, v4
	s_cbranch_vccz .LBB16_2025
; %bb.2024:
	s_waitcnt vmcnt(0)
	v_trunc_f32_e32 v1, v0
	s_mov_b32 s4, 0x2f800000
	v_mul_f32_e64 v5, |v1|, s4
	v_floor_f32_e32 v5, v5
	s_mov_b32 s4, 0xcf800000
	v_cvt_u32_f32_e32 v6, v5
	v_fma_f32 v5, v5, s4, |v1|
	v_cvt_u32_f32_e32 v5, v5
	v_ashrrev_i32_e32 v1, 31, v1
	v_xor_b32_e32 v7, v6, v1
	s_mov_b64 s[4:5], 0
	v_xor_b32_e32 v5, v5, v1
	v_sub_co_u32_e32 v6, vcc, v5, v1
	v_subb_co_u32_e32 v7, vcc, v7, v1, vcc
	global_store_dwordx2 v[2:3], v[6:7], off
.LBB16_2025:
	s_andn2_b64 vcc, exec, s[4:5]
	s_cbranch_vccnz .LBB16_2027
; %bb.2026:
	s_waitcnt vmcnt(0)
	v_cvt_i32_f32_e32 v1, v0
	global_store_dword v[2:3], v1, off
.LBB16_2027:
	s_mov_b64 s[4:5], 0
.LBB16_2028:
	s_andn2_b64 vcc, exec, s[4:5]
	s_cbranch_vccnz .LBB16_2030
; %bb.2029:
	s_waitcnt vmcnt(0)
	v_cvt_i32_f32_e32 v1, v0
	global_store_short v[2:3], v1, off
.LBB16_2030:
	s_mov_b64 s[4:5], 0
.LBB16_2031:
	s_andn2_b64 vcc, exec, s[4:5]
	s_cbranch_vccnz .LBB16_2036
; %bb.2032:
	v_cmp_lt_i16_e32 vcc, 0, v4
	s_mov_b64 s[4:5], -1
	s_cbranch_vccz .LBB16_2034
; %bb.2033:
	s_waitcnt vmcnt(0)
	v_cvt_i32_f32_e32 v1, v0
	s_mov_b64 s[4:5], 0
	global_store_byte v[2:3], v1, off
.LBB16_2034:
	s_andn2_b64 vcc, exec, s[4:5]
	s_cbranch_vccnz .LBB16_2036
; %bb.2035:
	s_waitcnt vmcnt(0)
	v_trunc_f32_e32 v0, v0
	s_mov_b32 s4, 0x2f800000
	v_mul_f32_e64 v1, |v0|, s4
	v_floor_f32_e32 v1, v1
	s_mov_b32 s4, 0xcf800000
	v_fma_f32 v1, v1, s4, |v0|
	v_cvt_u32_f32_e32 v1, v1
	v_ashrrev_i32_e32 v0, 31, v0
	v_xor_b32_e32 v1, v1, v0
	v_sub_u32_e32 v0, v1, v0
	global_store_byte v[2:3], v0, off
	s_endpgm
.LBB16_2036:
	s_endpgm
.LBB16_2037:
	s_mov_b64 s[6:7], 0
	s_mov_b64 s[4:5], -1
	s_branch .LBB16_1993
.LBB16_2038:
	s_or_saveexec_b64 s[12:13], s[12:13]
                                        ; implicit-def: $sgpr14
	s_xor_b64 exec, exec, s[12:13]
	s_cbranch_execz .LBB16_1826
.LBB16_2039:
	s_mov_b32 s14, 0x46000000
	v_add_f32_e64 v1, |v0|, s14
	v_and_b32_e32 v1, 0xff, v1
	v_cmp_ne_u32_e32 vcc, 0, v1
	s_andn2_b64 s[10:11], s[10:11], exec
	s_and_b64 s[16:17], vcc, exec
	s_mov_b32 s14, 0
	s_or_b64 s[10:11], s[10:11], s[16:17]
	s_or_b64 exec, exec, s[12:13]
	v_mov_b32_e32 v4, s14
	s_and_saveexec_b64 s[12:13], s[10:11]
	s_cbranch_execnz .LBB16_1827
	s_branch .LBB16_1828
.LBB16_2040:
	s_trap 2
	s_or_b64 s[48:49], s[48:49], exec
	s_cbranch_execz .LBB16_1874
	s_branch .LBB16_1875
.LBB16_2041:
	s_or_saveexec_b64 s[10:11], s[10:11]
                                        ; implicit-def: $sgpr12
	s_xor_b64 exec, exec, s[10:11]
	s_cbranch_execz .LBB16_1839
.LBB16_2042:
	s_mov_b32 s12, 0x42800000
	v_add_f32_e64 v1, |v0|, s12
	v_and_b32_e32 v1, 0xff, v1
	v_cmp_ne_u32_e32 vcc, 0, v1
	s_andn2_b64 s[8:9], s[8:9], exec
	s_and_b64 s[14:15], vcc, exec
	s_mov_b32 s12, 0
	s_or_b64 s[8:9], s[8:9], s[14:15]
	s_or_b64 exec, exec, s[10:11]
	v_mov_b32_e32 v4, s12
	s_and_saveexec_b64 s[10:11], s[8:9]
	s_cbranch_execnz .LBB16_1840
	s_branch .LBB16_1841
.LBB16_2043:
	s_or_saveexec_b64 s[12:13], s[12:13]
                                        ; implicit-def: $sgpr14
	s_xor_b64 exec, exec, s[12:13]
	s_cbranch_execz .LBB16_1945
.LBB16_2044:
	s_mov_b32 s14, 0x46000000
	v_add_f32_e64 v1, |v0|, s14
	v_and_b32_e32 v1, 0xff, v1
	v_cmp_ne_u32_e32 vcc, 0, v1
	s_andn2_b64 s[10:11], s[10:11], exec
	s_and_b64 s[16:17], vcc, exec
	s_mov_b32 s14, 0
	s_or_b64 s[10:11], s[10:11], s[16:17]
	s_or_b64 exec, exec, s[12:13]
	v_mov_b32_e32 v5, s14
	s_and_saveexec_b64 s[12:13], s[10:11]
	s_cbranch_execnz .LBB16_1946
	s_branch .LBB16_1947
.LBB16_2045:
	s_mov_b64 s[6:7], 0
	s_or_b64 s[48:49], s[48:49], exec
	s_trap 2
	s_branch .LBB16_1991
.LBB16_2046:
	s_or_saveexec_b64 s[10:11], s[10:11]
                                        ; implicit-def: $sgpr12
	s_xor_b64 exec, exec, s[10:11]
	s_cbranch_execz .LBB16_1957
.LBB16_2047:
	s_mov_b32 s12, 0x42800000
	v_add_f32_e64 v1, |v0|, s12
	v_and_b32_e32 v1, 0xff, v1
	v_cmp_ne_u32_e32 vcc, 0, v1
	s_andn2_b64 s[8:9], s[8:9], exec
	s_and_b64 s[14:15], vcc, exec
	s_mov_b32 s12, 0
	s_or_b64 s[8:9], s[8:9], s[14:15]
	s_or_b64 exec, exec, s[10:11]
	v_mov_b32_e32 v5, s12
	s_and_saveexec_b64 s[10:11], s[8:9]
	s_cbranch_execnz .LBB16_1958
	s_branch .LBB16_1959
	.section	.rodata,"a",@progbits
	.p2align	6, 0x0
	.amdhsa_kernel _ZN2at6native32elementwise_kernel_manual_unrollILi128ELi4EZNS0_15gpu_kernel_implIZZZNS0_12_GLOBAL__N_121bessel_j1_kernel_cudaERNS_18TensorIteratorBaseEENKUlvE_clEvENKUlvE0_clEvEUlfE_EEvS5_RKT_EUlibE_EEviT1_
		.amdhsa_group_segment_fixed_size 0
		.amdhsa_private_segment_fixed_size 16
		.amdhsa_kernarg_size 40
		.amdhsa_user_sgpr_count 8
		.amdhsa_user_sgpr_private_segment_buffer 1
		.amdhsa_user_sgpr_dispatch_ptr 0
		.amdhsa_user_sgpr_queue_ptr 0
		.amdhsa_user_sgpr_kernarg_segment_ptr 1
		.amdhsa_user_sgpr_dispatch_id 0
		.amdhsa_user_sgpr_flat_scratch_init 1
		.amdhsa_user_sgpr_kernarg_preload_length 0
		.amdhsa_user_sgpr_kernarg_preload_offset 0
		.amdhsa_user_sgpr_private_segment_size 0
		.amdhsa_uses_dynamic_stack 1
		.amdhsa_system_sgpr_private_segment_wavefront_offset 1
		.amdhsa_system_sgpr_workgroup_id_x 1
		.amdhsa_system_sgpr_workgroup_id_y 0
		.amdhsa_system_sgpr_workgroup_id_z 0
		.amdhsa_system_sgpr_workgroup_info 0
		.amdhsa_system_vgpr_workitem_id 0
		.amdhsa_next_free_vgpr 47
		.amdhsa_next_free_sgpr 63
		.amdhsa_accum_offset 48
		.amdhsa_reserve_vcc 1
		.amdhsa_reserve_flat_scratch 1
		.amdhsa_float_round_mode_32 0
		.amdhsa_float_round_mode_16_64 0
		.amdhsa_float_denorm_mode_32 3
		.amdhsa_float_denorm_mode_16_64 3
		.amdhsa_dx10_clamp 1
		.amdhsa_ieee_mode 1
		.amdhsa_fp16_overflow 0
		.amdhsa_tg_split 0
		.amdhsa_exception_fp_ieee_invalid_op 0
		.amdhsa_exception_fp_denorm_src 0
		.amdhsa_exception_fp_ieee_div_zero 0
		.amdhsa_exception_fp_ieee_overflow 0
		.amdhsa_exception_fp_ieee_underflow 0
		.amdhsa_exception_fp_ieee_inexact 0
		.amdhsa_exception_int_div_zero 0
	.end_amdhsa_kernel
	.section	.text._ZN2at6native32elementwise_kernel_manual_unrollILi128ELi4EZNS0_15gpu_kernel_implIZZZNS0_12_GLOBAL__N_121bessel_j1_kernel_cudaERNS_18TensorIteratorBaseEENKUlvE_clEvENKUlvE0_clEvEUlfE_EEvS5_RKT_EUlibE_EEviT1_,"axG",@progbits,_ZN2at6native32elementwise_kernel_manual_unrollILi128ELi4EZNS0_15gpu_kernel_implIZZZNS0_12_GLOBAL__N_121bessel_j1_kernel_cudaERNS_18TensorIteratorBaseEENKUlvE_clEvENKUlvE0_clEvEUlfE_EEvS5_RKT_EUlibE_EEviT1_,comdat
.Lfunc_end16:
	.size	_ZN2at6native32elementwise_kernel_manual_unrollILi128ELi4EZNS0_15gpu_kernel_implIZZZNS0_12_GLOBAL__N_121bessel_j1_kernel_cudaERNS_18TensorIteratorBaseEENKUlvE_clEvENKUlvE0_clEvEUlfE_EEvS5_RKT_EUlibE_EEviT1_, .Lfunc_end16-_ZN2at6native32elementwise_kernel_manual_unrollILi128ELi4EZNS0_15gpu_kernel_implIZZZNS0_12_GLOBAL__N_121bessel_j1_kernel_cudaERNS_18TensorIteratorBaseEENKUlvE_clEvENKUlvE0_clEvEUlfE_EEvS5_RKT_EUlibE_EEviT1_
                                        ; -- End function
	.section	.AMDGPU.csdata,"",@progbits
; Kernel info:
; codeLenInByte = 34232
; NumSgprs: 69
; NumVgprs: 47
; NumAgprs: 0
; TotalNumVgprs: 47
; ScratchSize: 16
; MemoryBound: 1
; FloatMode: 240
; IeeeMode: 1
; LDSByteSize: 0 bytes/workgroup (compile time only)
; SGPRBlocks: 8
; VGPRBlocks: 5
; NumSGPRsForWavesPerEU: 69
; NumVGPRsForWavesPerEU: 47
; AccumOffset: 48
; Occupancy: 8
; WaveLimiterHint : 0
; COMPUTE_PGM_RSRC2:SCRATCH_EN: 1
; COMPUTE_PGM_RSRC2:USER_SGPR: 8
; COMPUTE_PGM_RSRC2:TRAP_HANDLER: 0
; COMPUTE_PGM_RSRC2:TGID_X_EN: 1
; COMPUTE_PGM_RSRC2:TGID_Y_EN: 0
; COMPUTE_PGM_RSRC2:TGID_Z_EN: 0
; COMPUTE_PGM_RSRC2:TIDIG_COMP_CNT: 0
; COMPUTE_PGM_RSRC3_GFX90A:ACCUM_OFFSET: 11
; COMPUTE_PGM_RSRC3_GFX90A:TG_SPLIT: 0
	.section	.text._ZN2at6native32elementwise_kernel_manual_unrollILi128ELi4EZNS0_15gpu_kernel_implIZZZNS0_12_GLOBAL__N_121bessel_j1_kernel_cudaERNS_18TensorIteratorBaseEENKUlvE_clEvENKUlvE0_clEvEUlfE_EEvS5_RKT_EUlibE0_EEviT1_,"axG",@progbits,_ZN2at6native32elementwise_kernel_manual_unrollILi128ELi4EZNS0_15gpu_kernel_implIZZZNS0_12_GLOBAL__N_121bessel_j1_kernel_cudaERNS_18TensorIteratorBaseEENKUlvE_clEvENKUlvE0_clEvEUlfE_EEvS5_RKT_EUlibE0_EEviT1_,comdat
	.globl	_ZN2at6native32elementwise_kernel_manual_unrollILi128ELi4EZNS0_15gpu_kernel_implIZZZNS0_12_GLOBAL__N_121bessel_j1_kernel_cudaERNS_18TensorIteratorBaseEENKUlvE_clEvENKUlvE0_clEvEUlfE_EEvS5_RKT_EUlibE0_EEviT1_ ; -- Begin function _ZN2at6native32elementwise_kernel_manual_unrollILi128ELi4EZNS0_15gpu_kernel_implIZZZNS0_12_GLOBAL__N_121bessel_j1_kernel_cudaERNS_18TensorIteratorBaseEENKUlvE_clEvENKUlvE0_clEvEUlfE_EEvS5_RKT_EUlibE0_EEviT1_
	.p2align	8
	.type	_ZN2at6native32elementwise_kernel_manual_unrollILi128ELi4EZNS0_15gpu_kernel_implIZZZNS0_12_GLOBAL__N_121bessel_j1_kernel_cudaERNS_18TensorIteratorBaseEENKUlvE_clEvENKUlvE0_clEvEUlfE_EEvS5_RKT_EUlibE0_EEviT1_,@function
_ZN2at6native32elementwise_kernel_manual_unrollILi128ELi4EZNS0_15gpu_kernel_implIZZZNS0_12_GLOBAL__N_121bessel_j1_kernel_cudaERNS_18TensorIteratorBaseEENKUlvE_clEvENKUlvE0_clEvEUlfE_EEvS5_RKT_EUlibE0_EEviT1_: ; @_ZN2at6native32elementwise_kernel_manual_unrollILi128ELi4EZNS0_15gpu_kernel_implIZZZNS0_12_GLOBAL__N_121bessel_j1_kernel_cudaERNS_18TensorIteratorBaseEENKUlvE_clEvENKUlvE0_clEvEUlfE_EEvS5_RKT_EUlibE0_EEviT1_
; %bb.0:
	s_load_dword s84, s[4:5], 0x0
	s_load_dword s82, s[4:5], 0x8
	s_add_u32 flat_scratch_lo, s6, s9
	s_addc_u32 flat_scratch_hi, s7, 0
	s_add_u32 s0, s0, s9
	s_mov_b64 s[36:37], s[4:5]
	s_addc_u32 s1, s1, 0
	s_or_b32 s38, s36, 8
	v_lshl_or_b32 v45, s8, 9, v0
	s_waitcnt lgkmcnt(0)
	s_add_i32 s83, s82, -1
	v_or_b32_e32 v8, 0x180, v45
	s_cmp_gt_u32 s83, 1
	s_mov_b32 s39, s5
	v_cmp_le_i32_e32 vcc, s84, v8
	s_cselect_b64 s[54:55], -1, 0
	s_mov_b64 s[52:53], 0
	s_mov_b64 s[44:45], 0
	s_mov_b32 s32, 0
	s_and_saveexec_b64 s[4:5], vcc
	s_xor_b64 s[56:57], exec, s[4:5]
	s_cbranch_execz .LBB17_1090
; %bb.1:
	v_mov_b32_e32 v0, 0
	global_load_ushort v41, v0, s[38:39] offset:345
	s_load_dwordx4 s[48:51], s[38:39], 0x4
	s_load_dwordx2 s[58:59], s[38:39], 0x14
	s_load_dwordx4 s[44:47], s[38:39], 0xc4
	s_load_dwordx4 s[40:43], s[38:39], 0x148
	s_cmp_lg_u32 s82, 0
	s_cselect_b64 s[64:65], -1, 0
	s_add_u32 s62, s38, 0xc4
	s_addc_u32 s63, s39, 0
	s_min_u32 s85, s83, 15
	s_cmp_gt_u32 s82, 1
	v_cmp_gt_i32_e32 vcc, s84, v45
	s_mov_b64 s[6:7], -1
	s_mov_b64 s[74:75], 0
	s_mov_b64 s[68:69], 0
	s_cselect_b64 s[60:61], -1, 0
	s_mov_b64 s[66:67], 0
	s_waitcnt vmcnt(0)
	v_lshrrev_b16_e32 v44, 8, v41
	s_and_saveexec_b64 s[70:71], vcc
	s_cbranch_execz .LBB17_267
; %bb.2:
	s_andn2_b64 vcc, exec, s[54:55]
	s_cbranch_vccnz .LBB17_8
; %bb.3:
	s_mov_b32 s24, 0
	s_andn2_b64 vcc, exec, s[64:65]
	v_mov_b32_e32 v0, 0
	v_mov_b32_e32 v42, 0
	s_cbranch_vccnz .LBB17_14
; %bb.4:
	s_add_i32 s30, s85, 1
	s_cmp_eq_u32 s83, 2
	s_cbranch_scc1 .LBB17_9
; %bb.5:
	s_and_b32 s24, s30, 28
	s_mov_b32 s25, 0
	v_mov_b32_e32 v42, 0
	s_mov_b64 s[26:27], s[38:39]
	s_mov_b64 s[28:29], s[62:63]
	v_mov_b32_e32 v1, v45
	v_mov_b32_e32 v0, 0
.LBB17_6:                               ; =>This Inner Loop Header: Depth=1
	s_load_dwordx8 s[12:19], s[26:27], 0x4
	s_load_dwordx4 s[20:23], s[26:27], 0x24
	s_load_dwordx8 s[4:11], s[28:29], 0x0
	s_add_u32 s26, s26, 48
	s_addc_u32 s27, s27, 0
	s_waitcnt lgkmcnt(0)
	v_mul_hi_u32 v2, s13, v1
	v_add_u32_e32 v2, v1, v2
	v_lshrrev_b32_e32 v2, s14, v2
	v_mul_lo_u32 v3, v2, s12
	v_mul_hi_u32 v4, s16, v2
	v_sub_u32_e32 v1, v1, v3
	v_add_u32_e32 v3, v2, v4
	v_lshrrev_b32_e32 v3, s17, v3
	v_mul_lo_u32 v5, v3, s15
	v_mul_hi_u32 v6, s19, v3
	v_sub_u32_e32 v2, v2, v5
	v_add_u32_e32 v5, v3, v6
	v_mul_lo_u32 v4, v1, s5
	v_mul_lo_u32 v1, v1, s4
	;; [unrolled: 1-line block ×4, first 2 shown]
	v_lshrrev_b32_e32 v5, s20, v5
	v_add3_u32 v2, v1, v42, v2
	v_add3_u32 v0, v4, v0, v6
	v_mul_lo_u32 v1, v5, s18
	v_mul_hi_u32 v4, s22, v5
	v_sub_u32_e32 v1, v3, v1
	v_add_u32_e32 v3, v5, v4
	v_mul_lo_u32 v4, v1, s8
	v_mul_lo_u32 v6, v1, s9
	v_lshrrev_b32_e32 v1, s23, v3
	s_add_i32 s25, s25, 4
	v_mul_lo_u32 v3, v1, s21
	s_add_u32 s28, s28, 32
	v_sub_u32_e32 v3, v5, v3
	s_addc_u32 s29, s29, 0
	v_mul_lo_u32 v5, v3, s10
	v_mul_lo_u32 v3, v3, s11
	s_cmp_lg_u32 s24, s25
	v_add3_u32 v0, v6, v0, v3
	v_add3_u32 v42, v4, v2, v5
	s_cbranch_scc1 .LBB17_6
; %bb.7:
	v_mov_b32_e32 v43, v0
	s_branch .LBB17_10
.LBB17_8:
                                        ; implicit-def: $vgpr0
                                        ; implicit-def: $vgpr42
	s_branch .LBB17_15
.LBB17_9:
	s_mov_b32 s25, s24
	v_pk_mov_b32 v[42:43], s[24:25], s[24:25] op_sel:[0,1]
                                        ; implicit-def: $vgpr0
	v_mov_b32_e32 v1, v45
.LBB17_10:
	s_and_b32 s8, s30, 3
	s_cmp_eq_u32 s8, 0
	s_cbranch_scc1 .LBB17_14
; %bb.11:
	s_lshl_b32 s4, s24, 3
	s_add_u32 s4, s4, s38
	s_addc_u32 s5, s39, 0
	s_add_u32 s4, s4, 0xc4
	s_addc_u32 s5, s5, 0
	s_mul_i32 s6, s24, 12
	s_add_u32 s6, s38, s6
	s_addc_u32 s7, s39, 0
.LBB17_12:                              ; =>This Inner Loop Header: Depth=1
	s_load_dwordx2 s[10:11], s[6:7], 0x4
	s_load_dword s9, s[6:7], 0xc
	s_load_dwordx2 s[12:13], s[4:5], 0x0
	s_add_u32 s6, s6, 12
	s_addc_u32 s7, s7, 0
	s_waitcnt lgkmcnt(0)
	v_mul_hi_u32 v2, s11, v1
	v_add_u32_e32 v2, v1, v2
	v_lshrrev_b32_e32 v2, s9, v2
	v_mul_lo_u32 v3, v2, s10
	v_mov_b32_e32 v0, v43
	s_add_u32 s4, s4, 8
	v_sub_u32_e32 v4, v1, v3
	v_mov_b32_e32 v1, v2
	s_addc_u32 s5, s5, 0
	s_add_i32 s8, s8, -1
	v_mad_u64_u32 v[2:3], s[10:11], v4, s13, v[0:1]
	v_mad_u64_u32 v[42:43], s[10:11], v4, s12, v[42:43]
	s_cmp_lg_u32 s8, 0
	v_mov_b32_e32 v43, v2
	s_cbranch_scc1 .LBB17_12
; %bb.13:
	v_mov_b32_e32 v0, v43
.LBB17_14:
	s_cbranch_execnz .LBB17_17
.LBB17_15:
	s_waitcnt lgkmcnt(0)
	v_mul_hi_u32 v0, s49, v45
	v_add_u32_e32 v0, v45, v0
	v_lshrrev_b32_e32 v1, s50, v0
	v_mul_lo_u32 v0, v1, s48
	v_sub_u32_e32 v2, v45, v0
	v_mul_lo_u32 v0, v2, s45
	s_andn2_b64 vcc, exec, s[60:61]
	v_mul_lo_u32 v42, v2, s44
	s_cbranch_vccnz .LBB17_17
; %bb.16:
	v_mul_hi_u32 v2, s58, v1
	v_add_u32_e32 v2, v1, v2
	v_lshrrev_b32_e32 v2, s59, v2
	v_mul_lo_u32 v2, v2, s51
	v_sub_u32_e32 v1, v1, v2
	v_mad_u64_u32 v[42:43], s[4:5], v1, s46, v[42:43]
	v_mad_u64_u32 v[0:1], s[4:5], v1, s47, v[0:1]
.LBB17_17:
	s_waitcnt lgkmcnt(0)
	v_mov_b32_e32 v1, s43
	v_add_co_u32_e32 v2, vcc, s42, v0
	v_addc_co_u32_e32 v3, vcc, 0, v1, vcc
	v_cmp_gt_i16_e32 vcc, 11, v44
	s_cbranch_vccnz .LBB17_24
; %bb.18:
	v_cmp_lt_i16_e32 vcc, 25, v44
	s_cbranch_vccz .LBB17_33
; %bb.19:
	v_cmp_lt_i16_e32 vcc, 28, v44
	s_cbranch_vccz .LBB17_36
	;; [unrolled: 3-line block ×4, first 2 shown]
; %bb.22:
	v_cmp_eq_u16_e32 vcc, 46, v44
	s_mov_b64 s[6:7], 0
	s_cbranch_vccz .LBB17_42
; %bb.23:
	global_load_dword v0, v[2:3], off
	s_mov_b64 s[4:5], -1
	s_mov_b64 s[68:69], 0
	s_waitcnt vmcnt(0)
	v_lshlrev_b32_e32 v0, 16, v0
	s_branch .LBB17_44
.LBB17_24:
	s_mov_b64 s[68:69], 0
                                        ; implicit-def: $vgpr0
	s_mov_b64 s[4:5], 0
	s_cbranch_execnz .LBB17_217
.LBB17_25:
	s_andn2_b64 vcc, exec, s[4:5]
	s_cbranch_vccnz .LBB17_264
.LBB17_26:
	s_getpc_b64 s[4:5]
	s_add_u32 s4, s4, _Z17bessel_j1_forwardIfET_S0_@rel32@lo+4
	s_addc_u32 s5, s5, _Z17bessel_j1_forwardIfET_S0_@rel32@hi+12
	s_swappc_b64 s[30:31], s[4:5]
	v_mov_b32_e32 v1, s41
	v_add_co_u32_e32 v2, vcc, s40, v42
	v_addc_co_u32_e32 v3, vcc, 0, v1, vcc
	v_mov_b32_e32 v1, 11
	v_cmp_lt_i16_sdwa s[4:5], v41, v1 src0_sel:BYTE_0 src1_sel:DWORD
	s_and_b64 vcc, exec, s[4:5]
	s_cbranch_vccnz .LBB17_34
; %bb.27:
	v_mov_b32_e32 v1, 25
	v_cmp_gt_i16_sdwa s[4:5], v41, v1 src0_sel:BYTE_0 src1_sel:DWORD
	s_and_b64 vcc, exec, s[4:5]
	s_cbranch_vccz .LBB17_37
; %bb.28:
	v_mov_b32_e32 v1, 28
	v_cmp_gt_i16_sdwa s[4:5], v41, v1 src0_sel:BYTE_0 src1_sel:DWORD
	s_and_b64 vcc, exec, s[4:5]
	s_cbranch_vccz .LBB17_39
	;; [unrolled: 5-line block ×4, first 2 shown]
; %bb.31:
	v_mov_b32_e32 v1, 46
	v_cmp_eq_u16_sdwa s[6:7], v41, v1 src0_sel:BYTE_0 src1_sel:DWORD
	s_mov_b64 s[8:9], 0
	s_mov_b64 s[4:5], -1
	s_and_b64 vcc, exec, s[6:7]
	s_mov_b64 s[6:7], 0
	s_cbranch_vccz .LBB17_48
; %bb.32:
	v_bfe_u32 v1, v0, 16, 1
	s_movk_i32 s4, 0x7fff
	v_add3_u32 v1, v0, v1, s4
	v_lshrrev_b32_e32 v1, 16, v1
	v_mov_b32_e32 v4, 0x7fc0
	v_cmp_o_f32_e32 vcc, v0, v0
	v_cndmask_b32_e32 v1, v4, v1, vcc
	global_store_dword v[2:3], v1, off
	s_mov_b64 s[6:7], -1
	s_mov_b64 s[4:5], 0
	s_branch .LBB17_48
.LBB17_33:
	s_mov_b64 s[68:69], 0
	s_mov_b64 s[4:5], 0
                                        ; implicit-def: $vgpr0
	s_cbranch_execnz .LBB17_182
	s_branch .LBB17_216
.LBB17_34:
	s_mov_b64 s[4:5], 0
	s_mov_b64 s[6:7], 0
	s_cbranch_execnz .LBB17_117
.LBB17_35:
	s_andn2_b64 vcc, exec, s[6:7]
	s_cbranch_vccnz .LBB17_265
	s_branch .LBB17_155
.LBB17_36:
	s_mov_b64 s[6:7], -1
	s_mov_b64 s[68:69], 0
	s_mov_b64 s[4:5], 0
                                        ; implicit-def: $vgpr0
	s_branch .LBB17_163
.LBB17_37:
	s_mov_b64 s[8:9], -1
	s_mov_b64 s[4:5], 0
	s_mov_b64 s[6:7], 0
	s_branch .LBB17_75
.LBB17_38:
	s_mov_b64 s[6:7], -1
	s_mov_b64 s[68:69], 0
	s_mov_b64 s[4:5], 0
                                        ; implicit-def: $vgpr0
	s_branch .LBB17_158
.LBB17_39:
	s_mov_b64 s[8:9], -1
	s_mov_b64 s[4:5], 0
	s_mov_b64 s[6:7], 0
	s_branch .LBB17_58
.LBB17_40:
	s_mov_b64 s[6:7], -1
	s_mov_b64 s[68:69], 0
	s_branch .LBB17_43
.LBB17_41:
	s_mov_b64 s[8:9], -1
	s_mov_b64 s[4:5], 0
	s_mov_b64 s[6:7], 0
	s_branch .LBB17_54
.LBB17_42:
	s_mov_b64 s[68:69], -1
.LBB17_43:
	s_mov_b64 s[4:5], 0
                                        ; implicit-def: $vgpr0
.LBB17_44:
	s_and_b64 vcc, exec, s[6:7]
	s_cbranch_vccz .LBB17_157
; %bb.45:
	v_cmp_eq_u16_e32 vcc, 44, v44
	s_cbranch_vccz .LBB17_156
; %bb.46:
	global_load_ubyte v0, v[2:3], off
	s_movk_i32 s6, 0xff
	v_mov_b32_e32 v1, 0x7f800001
	v_mov_b32_e32 v4, 0x400000
	s_mov_b64 s[4:5], -1
	s_mov_b64 s[68:69], 0
	s_waitcnt vmcnt(0)
	v_lshlrev_b32_e32 v5, 23, v0
	v_cmp_ne_u32_e32 vcc, s6, v0
	v_cndmask_b32_e32 v1, v1, v5, vcc
	v_cmp_ne_u32_e32 vcc, 0, v0
	v_cndmask_b32_e32 v0, v4, v1, vcc
	s_branch .LBB17_157
.LBB17_47:
	s_mov_b64 s[8:9], -1
	s_mov_b64 s[4:5], 0
	s_mov_b64 s[6:7], 0
.LBB17_48:
	s_and_b64 vcc, exec, s[8:9]
	s_cbranch_vccz .LBB17_53
; %bb.49:
	v_mov_b32_e32 v1, 44
	v_cmp_eq_u16_sdwa s[8:9], v41, v1 src0_sel:BYTE_0 src1_sel:DWORD
	s_mov_b64 s[4:5], -1
	s_and_b64 vcc, exec, s[8:9]
	s_cbranch_vccz .LBB17_53
; %bb.50:
	v_bfe_u32 v1, v0, 23, 8
	s_movk_i32 s4, 0xff
	v_cmp_ne_u32_e32 vcc, s4, v1
	v_mov_b32_e32 v4, 0xff
	s_and_saveexec_b64 s[6:7], vcc
; %bb.51:
	s_mov_b32 s4, 0x3fffff
	v_and_b32_e32 v5, 0x400000, v0
	v_and_or_b32 v1, v0, s4, v1
	v_cmp_ne_u32_e32 vcc, 0, v5
	v_cmp_ne_u32_e64 s[4:5], 0, v1
	s_and_b64 s[4:5], vcc, s[4:5]
	v_lshrrev_b32_e32 v4, 23, v0
	v_cndmask_b32_e64 v1, 0, 1, s[4:5]
	v_add_u32_e32 v4, v4, v1
; %bb.52:
	s_or_b64 exec, exec, s[6:7]
	s_mov_b64 s[6:7], -1
	s_mov_b64 s[4:5], 0
	global_store_byte v[2:3], v4, off
.LBB17_53:
	s_mov_b64 s[8:9], 0
.LBB17_54:
	s_and_b64 vcc, exec, s[8:9]
	s_cbranch_vccz .LBB17_57
; %bb.55:
	v_mov_b32_e32 v1, 29
	v_cmp_eq_u16_sdwa s[8:9], v41, v1 src0_sel:BYTE_0 src1_sel:DWORD
	s_mov_b64 s[4:5], -1
	s_and_b64 vcc, exec, s[8:9]
	s_cbranch_vccz .LBB17_57
; %bb.56:
	v_trunc_f32_e32 v1, v0
	v_mul_f32_e32 v4, 0x2f800000, v1
	v_floor_f32_e32 v4, v4
	v_fmac_f32_e32 v1, 0xcf800000, v4
	v_cvt_u32_f32_e32 v5, v4
	v_cvt_u32_f32_e32 v4, v1
	s_mov_b64 s[6:7], -1
	s_mov_b64 s[4:5], 0
	s_mov_b64 s[8:9], 0
	global_store_dwordx2 v[2:3], v[4:5], off
	s_branch .LBB17_58
.LBB17_57:
	s_mov_b64 s[8:9], 0
.LBB17_58:
	s_and_b64 vcc, exec, s[8:9]
	s_cbranch_vccz .LBB17_74
; %bb.59:
	v_mov_b32_e32 v1, 27
	v_cmp_lt_i16_sdwa s[8:9], v41, v1 src0_sel:BYTE_0 src1_sel:DWORD
	s_mov_b64 s[6:7], -1
	s_and_b64 vcc, exec, s[8:9]
	s_cbranch_vccnz .LBB17_65
; %bb.60:
	v_cmp_gt_i16_sdwa s[8:9], v41, v1 src0_sel:BYTE_0 src1_sel:DWORD
	v_cvt_u32_f32_e32 v1, v0
	s_and_b64 vcc, exec, s[8:9]
	s_cbranch_vccz .LBB17_62
; %bb.61:
	s_mov_b64 s[6:7], 0
	global_store_dword v[2:3], v1, off
.LBB17_62:
	s_andn2_b64 vcc, exec, s[6:7]
	s_cbranch_vccnz .LBB17_64
; %bb.63:
	global_store_short v[2:3], v1, off
.LBB17_64:
	s_mov_b64 s[6:7], 0
.LBB17_65:
	s_andn2_b64 vcc, exec, s[6:7]
	s_cbranch_vccnz .LBB17_73
; %bb.66:
	v_and_b32_e32 v1, 0x7fffffff, v0
	s_mov_b32 s6, 0x43800000
	v_cmp_gt_u32_e32 vcc, s6, v1
	v_mov_b32_e32 v4, 0x80
	s_and_saveexec_b64 s[6:7], vcc
	s_cbranch_execz .LBB17_72
; %bb.67:
	s_mov_b32 s8, 0x3bffffff
	v_cmp_lt_u32_e32 vcc, s8, v1
	s_mov_b64 s[8:9], 0
                                        ; implicit-def: $vgpr1
	s_and_saveexec_b64 s[10:11], vcc
	s_xor_b64 s[10:11], exec, s[10:11]
	s_cbranch_execz .LBB17_309
; %bb.68:
	v_bfe_u32 v1, v0, 20, 1
	s_mov_b32 s12, 0x487ffff
	v_add3_u32 v1, v0, v1, s12
	s_mov_b64 s[8:9], exec
	v_lshrrev_b32_e32 v1, 20, v1
	s_or_saveexec_b64 s[10:11], s[10:11]
                                        ; implicit-def: $sgpr12
	s_xor_b64 exec, exec, s[10:11]
	s_cbranch_execnz .LBB17_310
.LBB17_69:
	s_or_b64 exec, exec, s[10:11]
	v_mov_b32_e32 v4, s12
	s_and_saveexec_b64 s[10:11], s[8:9]
.LBB17_70:
	v_lshrrev_b32_e32 v4, 24, v0
	s_movk_i32 s8, 0x80
	v_and_or_b32 v4, v4, s8, v1
.LBB17_71:
	s_or_b64 exec, exec, s[10:11]
.LBB17_72:
	s_or_b64 exec, exec, s[6:7]
	global_store_byte v[2:3], v4, off
.LBB17_73:
	s_mov_b64 s[6:7], -1
.LBB17_74:
	s_mov_b64 s[8:9], 0
.LBB17_75:
	s_and_b64 vcc, exec, s[8:9]
	s_cbranch_vccz .LBB17_116
; %bb.76:
	v_mov_b32_e32 v1, 22
	v_cmp_gt_i16_sdwa s[10:11], v41, v1 src0_sel:BYTE_0 src1_sel:DWORD
	s_mov_b64 s[8:9], -1
	s_and_b64 vcc, exec, s[10:11]
	s_cbranch_vccz .LBB17_108
; %bb.77:
	v_mov_b32_e32 v1, 24
	v_cmp_lt_i16_sdwa s[8:9], v41, v1 src0_sel:BYTE_0 src1_sel:DWORD
	s_mov_b64 s[6:7], -1
	s_and_b64 vcc, exec, s[8:9]
	s_cbranch_vccnz .LBB17_97
; %bb.78:
	v_cmp_gt_i16_sdwa s[8:9], v41, v1 src0_sel:BYTE_0 src1_sel:DWORD
	s_and_b64 vcc, exec, s[8:9]
	s_cbranch_vccz .LBB17_86
; %bb.79:
	v_and_b32_e32 v1, 0x7fffffff, v0
	s_mov_b32 s6, 0x47800000
	v_cmp_gt_u32_e32 vcc, s6, v1
	v_mov_b32_e32 v4, 0x80
	s_and_saveexec_b64 s[6:7], vcc
	s_cbranch_execz .LBB17_85
; %bb.80:
	s_mov_b32 s8, 0x37ffffff
	v_cmp_lt_u32_e32 vcc, s8, v1
	s_mov_b64 s[8:9], 0
                                        ; implicit-def: $vgpr1
	s_and_saveexec_b64 s[10:11], vcc
	s_xor_b64 s[10:11], exec, s[10:11]
	s_cbranch_execz .LBB17_313
; %bb.81:
	v_bfe_u32 v1, v0, 21, 1
	s_mov_b32 s12, 0x88fffff
	v_add3_u32 v1, v0, v1, s12
	s_mov_b64 s[8:9], exec
	v_lshrrev_b32_e32 v1, 21, v1
	s_or_saveexec_b64 s[10:11], s[10:11]
                                        ; implicit-def: $sgpr12
	s_xor_b64 exec, exec, s[10:11]
	s_cbranch_execnz .LBB17_314
.LBB17_82:
	s_or_b64 exec, exec, s[10:11]
	v_mov_b32_e32 v4, s12
	s_and_saveexec_b64 s[10:11], s[8:9]
.LBB17_83:
	v_lshrrev_b32_e32 v4, 24, v0
	s_movk_i32 s8, 0x80
	v_and_or_b32 v4, v4, s8, v1
.LBB17_84:
	s_or_b64 exec, exec, s[10:11]
.LBB17_85:
	s_or_b64 exec, exec, s[6:7]
	s_mov_b64 s[6:7], 0
	global_store_byte v[2:3], v4, off
.LBB17_86:
	s_and_b64 vcc, exec, s[6:7]
	s_cbranch_vccz .LBB17_96
; %bb.87:
	v_and_b32_e32 v4, 0x7fffffff, v0
	s_mov_b32 s6, 0x43f00000
	v_cmp_gt_u32_e32 vcc, s6, v4
                                        ; implicit-def: $vgpr1
	s_and_saveexec_b64 s[6:7], vcc
	s_xor_b64 s[6:7], exec, s[6:7]
	s_cbranch_execz .LBB17_93
; %bb.88:
	s_mov_b32 s8, 0x3c7fffff
	v_cmp_lt_u32_e32 vcc, s8, v4
                                        ; implicit-def: $vgpr1
	s_and_saveexec_b64 s[8:9], vcc
	s_xor_b64 s[8:9], exec, s[8:9]
; %bb.89:
	v_bfe_u32 v1, v0, 20, 1
	s_mov_b32 s10, 0x407ffff
	v_add3_u32 v1, v0, v1, s10
	v_lshrrev_b32_e32 v4, 20, v1
	v_and_b32_e32 v1, 0xff00000, v1
	s_mov_b32 s10, 0x7f00000
	v_mov_b32_e32 v5, 0x7e
	v_cmp_ne_u32_e32 vcc, s10, v1
	v_cndmask_b32_e32 v1, v5, v4, vcc
; %bb.90:
	s_andn2_saveexec_b64 s[8:9], s[8:9]
; %bb.91:
	s_mov_b32 s10, 0x46800000
	v_add_f32_e64 v1, |v0|, s10
; %bb.92:
	s_or_b64 exec, exec, s[8:9]
                                        ; implicit-def: $vgpr4
.LBB17_93:
	s_andn2_saveexec_b64 s[6:7], s[6:7]
; %bb.94:
	s_mov_b32 s8, 0x7f800000
	v_mov_b32_e32 v1, 0x7e
	v_mov_b32_e32 v5, 0x7f
	v_cmp_lt_u32_e32 vcc, s8, v4
	v_cndmask_b32_e32 v1, v1, v5, vcc
; %bb.95:
	s_or_b64 exec, exec, s[6:7]
	v_lshrrev_b32_e32 v4, 24, v0
	s_movk_i32 s6, 0x80
	v_and_or_b32 v1, v4, s6, v1
	global_store_byte v[2:3], v1, off
.LBB17_96:
	s_mov_b64 s[6:7], 0
.LBB17_97:
	s_andn2_b64 vcc, exec, s[6:7]
	s_cbranch_vccnz .LBB17_107
; %bb.98:
	v_and_b32_e32 v4, 0x7fffffff, v0
	s_mov_b32 s6, 0x47800000
	v_cmp_gt_u32_e32 vcc, s6, v4
                                        ; implicit-def: $vgpr1
	s_and_saveexec_b64 s[6:7], vcc
	s_xor_b64 s[6:7], exec, s[6:7]
	s_cbranch_execz .LBB17_104
; %bb.99:
	s_mov_b32 s8, 0x387fffff
	v_cmp_lt_u32_e32 vcc, s8, v4
                                        ; implicit-def: $vgpr1
	s_and_saveexec_b64 s[8:9], vcc
	s_xor_b64 s[8:9], exec, s[8:9]
; %bb.100:
	v_bfe_u32 v1, v0, 21, 1
	s_mov_b32 s10, 0x80fffff
	v_add3_u32 v1, v0, v1, s10
	v_lshrrev_b32_e32 v1, 21, v1
; %bb.101:
	s_andn2_saveexec_b64 s[8:9], s[8:9]
; %bb.102:
	s_mov_b32 s10, 0x43000000
	v_add_f32_e64 v1, |v0|, s10
; %bb.103:
	s_or_b64 exec, exec, s[8:9]
                                        ; implicit-def: $vgpr4
.LBB17_104:
	s_andn2_saveexec_b64 s[6:7], s[6:7]
; %bb.105:
	s_mov_b32 s8, 0x7f800000
	v_mov_b32_e32 v1, 0x7c
	v_mov_b32_e32 v5, 0x7f
	v_cmp_lt_u32_e32 vcc, s8, v4
	v_cndmask_b32_e32 v1, v1, v5, vcc
; %bb.106:
	s_or_b64 exec, exec, s[6:7]
	v_lshrrev_b32_e32 v4, 24, v0
	s_movk_i32 s6, 0x80
	v_and_or_b32 v1, v4, s6, v1
	global_store_byte v[2:3], v1, off
.LBB17_107:
	s_mov_b64 s[8:9], 0
	s_mov_b64 s[6:7], -1
.LBB17_108:
	s_andn2_b64 vcc, exec, s[8:9]
	s_cbranch_vccnz .LBB17_116
; %bb.109:
	v_mov_b32_e32 v1, 14
	v_cmp_gt_i16_sdwa s[10:11], v41, v1 src0_sel:BYTE_0 src1_sel:DWORD
	s_mov_b64 s[8:9], -1
	s_and_b64 vcc, exec, s[10:11]
	s_cbranch_vccz .LBB17_113
; %bb.110:
	v_mov_b32_e32 v1, 15
	v_cmp_eq_u16_sdwa s[8:9], v41, v1 src0_sel:BYTE_0 src1_sel:DWORD
	s_mov_b64 s[4:5], -1
	s_and_b64 vcc, exec, s[8:9]
	s_cbranch_vccz .LBB17_112
; %bb.111:
	v_bfe_u32 v1, v0, 16, 1
	s_movk_i32 s4, 0x7fff
	v_add3_u32 v1, v0, v1, s4
	v_lshrrev_b32_e32 v1, 16, v1
	v_mov_b32_e32 v4, 0x7fc0
	v_cmp_o_f32_e32 vcc, v0, v0
	v_cndmask_b32_e32 v1, v4, v1, vcc
	global_store_short v[2:3], v1, off
	s_mov_b64 s[6:7], -1
	s_mov_b64 s[4:5], 0
.LBB17_112:
	s_mov_b64 s[8:9], 0
.LBB17_113:
	s_and_b64 vcc, exec, s[8:9]
	s_cbranch_vccz .LBB17_116
; %bb.114:
	v_mov_b32_e32 v1, 11
	v_cmp_eq_u16_sdwa s[8:9], v41, v1 src0_sel:BYTE_0 src1_sel:DWORD
	s_mov_b64 s[4:5], -1
	s_and_b64 vcc, exec, s[8:9]
	s_cbranch_vccz .LBB17_116
; %bb.115:
	v_cmp_neq_f32_e32 vcc, 0, v0
	v_cndmask_b32_e64 v1, 0, 1, vcc
	s_mov_b64 s[6:7], -1
	s_mov_b64 s[4:5], 0
	global_store_byte v[2:3], v1, off
.LBB17_116:
	s_branch .LBB17_35
.LBB17_117:
	v_mov_b32_e32 v1, 5
	v_cmp_lt_i16_sdwa s[8:9], v41, v1 src0_sel:BYTE_0 src1_sel:DWORD
	s_mov_b64 s[6:7], -1
	s_and_b64 vcc, exec, s[8:9]
	s_cbranch_vccnz .LBB17_138
; %bb.118:
	v_mov_b32_e32 v1, 8
	v_cmp_lt_i16_sdwa s[8:9], v41, v1 src0_sel:BYTE_0 src1_sel:DWORD
	s_and_b64 vcc, exec, s[8:9]
	s_cbranch_vccnz .LBB17_128
; %bb.119:
	v_mov_b32_e32 v1, 9
	v_cmp_lt_i16_sdwa s[8:9], v41, v1 src0_sel:BYTE_0 src1_sel:DWORD
	s_and_b64 vcc, exec, s[8:9]
	s_cbranch_vccnz .LBB17_125
; %bb.120:
	v_cmp_gt_i16_sdwa s[8:9], v41, v1 src0_sel:BYTE_0 src1_sel:DWORD
	s_and_b64 vcc, exec, s[8:9]
	s_cbranch_vccz .LBB17_122
; %bb.121:
	v_mov_b32_e32 v6, 0
	v_cvt_f64_f32_e32 v[4:5], v0
	v_mov_b32_e32 v7, v6
	global_store_dwordx4 v[2:3], v[4:7], off
	s_mov_b64 s[6:7], 0
.LBB17_122:
	s_andn2_b64 vcc, exec, s[6:7]
	s_cbranch_vccnz .LBB17_124
; %bb.123:
	v_mov_b32_e32 v1, 0
	global_store_dwordx2 v[2:3], v[0:1], off
.LBB17_124:
	s_mov_b64 s[6:7], 0
.LBB17_125:
	s_andn2_b64 vcc, exec, s[6:7]
	s_cbranch_vccnz .LBB17_127
; %bb.126:
	v_cvt_f16_f32_e32 v1, v0
	global_store_dword v[2:3], v1, off
.LBB17_127:
	s_mov_b64 s[6:7], 0
.LBB17_128:
	s_andn2_b64 vcc, exec, s[6:7]
	s_cbranch_vccnz .LBB17_137
; %bb.129:
	v_mov_b32_e32 v1, 6
	v_cmp_lt_i16_sdwa s[8:9], v41, v1 src0_sel:BYTE_0 src1_sel:DWORD
	s_mov_b64 s[6:7], -1
	s_and_b64 vcc, exec, s[8:9]
	s_cbranch_vccnz .LBB17_135
; %bb.130:
	v_cmp_gt_i16_sdwa s[8:9], v41, v1 src0_sel:BYTE_0 src1_sel:DWORD
	s_and_b64 vcc, exec, s[8:9]
	s_cbranch_vccz .LBB17_132
; %bb.131:
	v_cvt_f64_f32_e32 v[4:5], v0
	global_store_dwordx2 v[2:3], v[4:5], off
	s_mov_b64 s[6:7], 0
.LBB17_132:
	s_andn2_b64 vcc, exec, s[6:7]
	s_cbranch_vccnz .LBB17_134
; %bb.133:
	global_store_dword v[2:3], v0, off
.LBB17_134:
	s_mov_b64 s[6:7], 0
.LBB17_135:
	s_andn2_b64 vcc, exec, s[6:7]
	s_cbranch_vccnz .LBB17_137
; %bb.136:
	v_cvt_f16_f32_e32 v1, v0
	global_store_short v[2:3], v1, off
.LBB17_137:
	s_mov_b64 s[6:7], 0
.LBB17_138:
	s_andn2_b64 vcc, exec, s[6:7]
	s_cbranch_vccnz .LBB17_154
; %bb.139:
	v_mov_b32_e32 v1, 2
	v_cmp_lt_i16_sdwa s[8:9], v41, v1 src0_sel:BYTE_0 src1_sel:DWORD
	s_mov_b64 s[6:7], -1
	s_and_b64 vcc, exec, s[8:9]
	s_cbranch_vccnz .LBB17_149
; %bb.140:
	v_mov_b32_e32 v1, 3
	v_cmp_lt_i16_sdwa s[8:9], v41, v1 src0_sel:BYTE_0 src1_sel:DWORD
	s_and_b64 vcc, exec, s[8:9]
	s_cbranch_vccnz .LBB17_146
; %bb.141:
	v_cmp_gt_i16_sdwa s[8:9], v41, v1 src0_sel:BYTE_0 src1_sel:DWORD
	s_and_b64 vcc, exec, s[8:9]
	s_cbranch_vccz .LBB17_143
; %bb.142:
	v_trunc_f32_e32 v1, v0
	s_mov_b32 s6, 0x2f800000
	v_mul_f32_e64 v4, |v1|, s6
	v_floor_f32_e32 v4, v4
	s_mov_b32 s6, 0xcf800000
	v_cvt_u32_f32_e32 v5, v4
	v_fma_f32 v4, v4, s6, |v1|
	v_cvt_u32_f32_e32 v4, v4
	v_ashrrev_i32_e32 v1, 31, v1
	v_xor_b32_e32 v5, v5, v1
	s_mov_b64 s[6:7], 0
	v_xor_b32_e32 v4, v4, v1
	v_sub_co_u32_e32 v4, vcc, v4, v1
	v_subb_co_u32_e32 v5, vcc, v5, v1, vcc
	global_store_dwordx2 v[2:3], v[4:5], off
.LBB17_143:
	s_andn2_b64 vcc, exec, s[6:7]
	s_cbranch_vccnz .LBB17_145
; %bb.144:
	v_cvt_i32_f32_e32 v1, v0
	global_store_dword v[2:3], v1, off
.LBB17_145:
	s_mov_b64 s[6:7], 0
.LBB17_146:
	s_andn2_b64 vcc, exec, s[6:7]
	s_cbranch_vccnz .LBB17_148
; %bb.147:
	v_cvt_i32_f32_e32 v1, v0
	global_store_short v[2:3], v1, off
.LBB17_148:
	s_mov_b64 s[6:7], 0
.LBB17_149:
	s_andn2_b64 vcc, exec, s[6:7]
	s_cbranch_vccnz .LBB17_154
; %bb.150:
	v_mov_b32_e32 v1, 0
	v_cmp_gt_i16_sdwa s[8:9], v41, v1 src0_sel:BYTE_0 src1_sel:DWORD
	s_mov_b64 s[6:7], -1
	s_and_b64 vcc, exec, s[8:9]
	s_cbranch_vccz .LBB17_152
; %bb.151:
	v_cvt_i32_f32_e32 v1, v0
	s_mov_b64 s[6:7], 0
	global_store_byte v[2:3], v1, off
.LBB17_152:
	s_andn2_b64 vcc, exec, s[6:7]
	s_cbranch_vccnz .LBB17_154
; %bb.153:
	v_trunc_f32_e32 v0, v0
	s_mov_b32 s6, 0x2f800000
	v_mul_f32_e64 v1, |v0|, s6
	v_floor_f32_e32 v1, v1
	s_mov_b32 s6, 0xcf800000
	v_fma_f32 v1, v1, s6, |v0|
	v_cvt_u32_f32_e32 v1, v1
	v_ashrrev_i32_e32 v0, 31, v0
	v_xor_b32_e32 v1, v1, v0
	v_sub_u32_e32 v0, v1, v0
	global_store_byte v[2:3], v0, off
.LBB17_154:
.LBB17_155:
	v_add_u32_e32 v45, 0x80, v45
	s_mov_b64 s[6:7], -1
	s_branch .LBB17_266
.LBB17_156:
	s_mov_b64 s[68:69], -1
                                        ; implicit-def: $vgpr0
.LBB17_157:
	s_mov_b64 s[6:7], 0
.LBB17_158:
	s_and_b64 vcc, exec, s[6:7]
	s_cbranch_vccz .LBB17_162
; %bb.159:
	v_cmp_eq_u16_e32 vcc, 29, v44
	s_cbranch_vccz .LBB17_161
; %bb.160:
	global_load_dwordx2 v[0:1], v[2:3], off
	s_mov_b64 s[4:5], -1
	s_mov_b64 s[68:69], 0
	s_mov_b64 s[6:7], 0
	s_waitcnt vmcnt(0)
	v_ffbh_u32_e32 v4, v1
	v_min_u32_e32 v4, 32, v4
	v_lshlrev_b64 v[0:1], v4, v[0:1]
	v_min_u32_e32 v0, 1, v0
	v_or_b32_e32 v0, v1, v0
	v_cvt_f32_u32_e32 v0, v0
	v_sub_u32_e32 v1, 32, v4
	v_ldexp_f32 v0, v0, v1
	s_branch .LBB17_163
.LBB17_161:
	s_mov_b64 s[68:69], -1
                                        ; implicit-def: $vgpr0
.LBB17_162:
	s_mov_b64 s[6:7], 0
.LBB17_163:
	s_and_b64 vcc, exec, s[6:7]
	s_cbranch_vccz .LBB17_181
; %bb.164:
	v_cmp_gt_i16_e32 vcc, 27, v44
	s_cbranch_vccnz .LBB17_167
; %bb.165:
	v_cmp_lt_i16_e32 vcc, 27, v44
	s_cbranch_vccz .LBB17_168
; %bb.166:
	global_load_dword v0, v[2:3], off
	s_mov_b64 s[4:5], 0
	s_waitcnt vmcnt(0)
	v_cvt_f32_u32_e32 v0, v0
	s_branch .LBB17_169
.LBB17_167:
	s_mov_b64 s[4:5], -1
                                        ; implicit-def: $vgpr0
	s_branch .LBB17_172
.LBB17_168:
	s_mov_b64 s[4:5], -1
                                        ; implicit-def: $vgpr0
.LBB17_169:
	s_andn2_b64 vcc, exec, s[4:5]
	s_cbranch_vccnz .LBB17_171
; %bb.170:
	global_load_ushort v0, v[2:3], off
	s_waitcnt vmcnt(0)
	v_cvt_f32_u32_e32 v0, v0
.LBB17_171:
	s_mov_b64 s[4:5], 0
.LBB17_172:
	s_andn2_b64 vcc, exec, s[4:5]
	s_cbranch_vccnz .LBB17_180
; %bb.173:
	global_load_ubyte v1, v[2:3], off
	s_movk_i32 s4, 0x7f
                                        ; implicit-def: $sgpr10
	s_waitcnt vmcnt(0)
	v_cmp_lt_i16_e32 vcc, s4, v1
	s_mov_b64 s[4:5], 0
	s_and_saveexec_b64 s[6:7], vcc
	s_xor_b64 s[6:7], exec, s[6:7]
	s_cbranch_execz .LBB17_193
; %bb.174:
	s_movk_i32 s4, 0x80
	v_cmp_eq_u16_e32 vcc, s4, v1
	s_mov_b64 s[4:5], -1
                                        ; implicit-def: $sgpr10
	s_and_saveexec_b64 s[8:9], vcc
; %bb.175:
	s_mov_b32 s10, 0x7f800001
	s_xor_b64 s[4:5], exec, -1
; %bb.176:
	s_or_b64 exec, exec, s[8:9]
	s_and_b64 s[4:5], s[4:5], exec
	s_or_saveexec_b64 s[6:7], s[6:7]
	v_mov_b32_e32 v0, s10
	s_xor_b64 exec, exec, s[6:7]
	s_cbranch_execnz .LBB17_194
.LBB17_177:
	s_or_b64 exec, exec, s[6:7]
	s_and_saveexec_b64 s[6:7], s[4:5]
	s_cbranch_execz .LBB17_179
.LBB17_178:
	v_lshlrev_b32_e32 v0, 24, v1
	v_and_b32_e32 v1, 0xffff, v1
	v_and_b32_e32 v4, 7, v1
	v_ffbh_u32_e32 v6, v4
	v_min_u32_e32 v6, 32, v6
	v_subrev_u32_e32 v7, 28, v6
	v_bfe_u32 v5, v1, 3, 4
	v_lshlrev_b32_e32 v1, v7, v1
	v_sub_u32_e32 v6, 29, v6
	v_and_b32_e32 v1, 7, v1
	v_cmp_eq_u32_e32 vcc, 0, v5
	v_cndmask_b32_e32 v5, v5, v6, vcc
	v_cndmask_b32_e32 v1, v4, v1, vcc
	v_mov_b32_e32 v4, 0x3b800000
	v_lshlrev_b32_e32 v1, 20, v1
	v_and_b32_e32 v0, 0x80000000, v0
	v_lshl_add_u32 v4, v5, 23, v4
	v_or3_b32 v0, v0, v4, v1
.LBB17_179:
	s_or_b64 exec, exec, s[6:7]
.LBB17_180:
	s_mov_b64 s[4:5], -1
.LBB17_181:
	s_branch .LBB17_216
.LBB17_182:
	v_cmp_lt_i16_e32 vcc, 22, v44
	s_cbranch_vccz .LBB17_192
; %bb.183:
	v_cmp_gt_i16_e32 vcc, 24, v44
	s_cbranch_vccnz .LBB17_195
; %bb.184:
	v_cmp_lt_i16_e32 vcc, 24, v44
	s_cbranch_vccz .LBB17_196
; %bb.185:
	global_load_ubyte v1, v[2:3], off
	s_movk_i32 s4, 0x7f
                                        ; implicit-def: $sgpr10
	s_waitcnt vmcnt(0)
	v_cmp_lt_i16_e32 vcc, s4, v1
	s_mov_b64 s[4:5], 0
	s_and_saveexec_b64 s[6:7], vcc
	s_xor_b64 s[6:7], exec, s[6:7]
	s_cbranch_execz .LBB17_208
; %bb.186:
	s_movk_i32 s4, 0x80
	v_cmp_eq_u16_e32 vcc, s4, v1
	s_mov_b64 s[4:5], -1
                                        ; implicit-def: $sgpr10
	s_and_saveexec_b64 s[8:9], vcc
; %bb.187:
	s_mov_b32 s10, 0x7f800001
	s_xor_b64 s[4:5], exec, -1
; %bb.188:
	s_or_b64 exec, exec, s[8:9]
	s_and_b64 s[4:5], s[4:5], exec
	s_or_saveexec_b64 s[6:7], s[6:7]
	v_mov_b32_e32 v0, s10
	s_xor_b64 exec, exec, s[6:7]
	s_cbranch_execnz .LBB17_209
.LBB17_189:
	s_or_b64 exec, exec, s[6:7]
	s_and_saveexec_b64 s[6:7], s[4:5]
	s_cbranch_execz .LBB17_191
.LBB17_190:
	v_lshlrev_b32_e32 v0, 24, v1
	v_and_b32_e32 v1, 0xffff, v1
	v_and_b32_e32 v4, 3, v1
	v_ffbh_u32_e32 v6, v4
	v_min_u32_e32 v6, 32, v6
	v_subrev_u32_e32 v7, 29, v6
	v_bfe_u32 v5, v1, 2, 5
	v_lshlrev_b32_e32 v1, v7, v1
	v_sub_u32_e32 v6, 30, v6
	v_and_b32_e32 v1, 3, v1
	v_cmp_eq_u32_e32 vcc, 0, v5
	v_cndmask_b32_e32 v5, v5, v6, vcc
	v_cndmask_b32_e32 v1, v4, v1, vcc
	v_mov_b32_e32 v4, 0x37800000
	v_lshlrev_b32_e32 v1, 21, v1
	v_and_b32_e32 v0, 0x80000000, v0
	v_lshl_add_u32 v4, v5, 23, v4
	v_or3_b32 v0, v0, v4, v1
.LBB17_191:
	s_or_b64 exec, exec, s[6:7]
	s_mov_b64 s[4:5], 0
	s_branch .LBB17_197
.LBB17_192:
	s_mov_b64 s[6:7], -1
                                        ; implicit-def: $vgpr0
	s_branch .LBB17_203
.LBB17_193:
	s_or_saveexec_b64 s[6:7], s[6:7]
	v_mov_b32_e32 v0, s10
	s_xor_b64 exec, exec, s[6:7]
	s_cbranch_execz .LBB17_177
.LBB17_194:
	v_cmp_ne_u16_e32 vcc, 0, v1
	s_andn2_b64 s[4:5], s[4:5], exec
	s_and_b64 s[8:9], vcc, exec
	v_mov_b32_e32 v0, 0
	s_or_b64 s[4:5], s[4:5], s[8:9]
	s_or_b64 exec, exec, s[6:7]
	s_and_saveexec_b64 s[6:7], s[4:5]
	s_cbranch_execnz .LBB17_178
	s_branch .LBB17_179
.LBB17_195:
	s_mov_b64 s[4:5], -1
                                        ; implicit-def: $vgpr0
	s_branch .LBB17_200
.LBB17_196:
	s_mov_b64 s[4:5], -1
                                        ; implicit-def: $vgpr0
.LBB17_197:
	s_and_b64 vcc, exec, s[4:5]
	s_cbranch_vccz .LBB17_199
; %bb.198:
	global_load_ubyte v0, v[2:3], off
	s_mov_b32 s4, 0x7f800000
	s_waitcnt vmcnt(0)
	v_lshlrev_b32_e32 v0, 24, v0
	v_and_b32_e32 v1, 0x7f000000, v0
	v_ffbh_u32_e32 v4, v1
	v_min_u32_e32 v4, 32, v4
	v_sub_u32_e64 v4, v4, 4 clamp
	v_lshlrev_b32_e32 v6, v4, v1
	v_lshlrev_b32_e32 v4, 23, v4
	v_lshrrev_b32_e32 v6, 4, v6
	v_add_u32_e32 v5, 0x1000000, v1
	v_sub_u32_e32 v4, v6, v4
	v_ashrrev_i32_e32 v5, 8, v5
	v_add_u32_e32 v4, 0x3c000000, v4
	v_and_or_b32 v4, v5, s4, v4
	v_cmp_ne_u32_e32 vcc, 0, v1
	v_cndmask_b32_e32 v1, 0, v4, vcc
	s_brev_b32 s4, 1
	v_and_or_b32 v0, v0, s4, v1
.LBB17_199:
	s_mov_b64 s[4:5], 0
.LBB17_200:
	s_andn2_b64 vcc, exec, s[4:5]
	s_cbranch_vccnz .LBB17_202
; %bb.201:
	global_load_ubyte v0, v[2:3], off
	s_movk_i32 s4, 0x7f00
	s_brev_b32 s5, 16
	s_waitcnt vmcnt(0)
	v_lshlrev_b16_e32 v1, 8, v0
	v_lshlrev_b32_e32 v0, 25, v0
	v_lshrrev_b32_e32 v4, 4, v0
	v_and_or_b32 v5, v1, s4, 0.5
	v_or_b32_e32 v4, 0x70000000, v4
	v_add_f32_e32 v5, -0.5, v5
	v_mul_f32_e32 v4, 0x7800000, v4
	v_cmp_gt_u32_e32 vcc, s5, v0
	v_bfe_i32 v1, v1, 0, 16
	v_cndmask_b32_e32 v0, v4, v5, vcc
	s_brev_b32 s4, 1
	v_and_or_b32 v0, v1, s4, v0
.LBB17_202:
	s_mov_b64 s[6:7], 0
	s_mov_b64 s[4:5], -1
.LBB17_203:
	s_andn2_b64 vcc, exec, s[6:7]
	s_cbranch_vccnz .LBB17_216
; %bb.204:
	v_cmp_lt_i16_e32 vcc, 14, v44
	s_cbranch_vccz .LBB17_207
; %bb.205:
	v_cmp_eq_u16_e32 vcc, 15, v44
	s_cbranch_vccz .LBB17_210
; %bb.206:
	global_load_ushort v0, v[2:3], off
	s_mov_b64 s[4:5], -1
	s_mov_b64 s[68:69], 0
	s_waitcnt vmcnt(0)
	v_lshlrev_b32_e32 v0, 16, v0
	s_branch .LBB17_211
.LBB17_207:
	s_mov_b64 s[6:7], -1
                                        ; implicit-def: $vgpr0
	s_branch .LBB17_212
.LBB17_208:
	s_or_saveexec_b64 s[6:7], s[6:7]
	v_mov_b32_e32 v0, s10
	s_xor_b64 exec, exec, s[6:7]
	s_cbranch_execz .LBB17_189
.LBB17_209:
	v_cmp_ne_u16_e32 vcc, 0, v1
	s_andn2_b64 s[4:5], s[4:5], exec
	s_and_b64 s[8:9], vcc, exec
	v_mov_b32_e32 v0, 0
	s_or_b64 s[4:5], s[4:5], s[8:9]
	s_or_b64 exec, exec, s[6:7]
	s_and_saveexec_b64 s[6:7], s[4:5]
	s_cbranch_execnz .LBB17_190
	s_branch .LBB17_191
.LBB17_210:
	s_mov_b64 s[68:69], -1
                                        ; implicit-def: $vgpr0
.LBB17_211:
	s_mov_b64 s[6:7], 0
.LBB17_212:
	s_and_b64 vcc, exec, s[6:7]
	s_cbranch_vccz .LBB17_216
; %bb.213:
	v_cmp_eq_u16_e32 vcc, 11, v44
	s_cbranch_vccz .LBB17_215
; %bb.214:
	global_load_ubyte v0, v[2:3], off
	s_mov_b64 s[4:5], -1
	s_mov_b64 s[68:69], 0
	s_waitcnt vmcnt(0)
	v_cmp_ne_u16_e32 vcc, 0, v0
	v_cndmask_b32_e64 v0, 0, 1.0, vcc
	s_branch .LBB17_216
.LBB17_215:
	s_mov_b64 s[68:69], -1
                                        ; implicit-def: $vgpr0
.LBB17_216:
	s_branch .LBB17_25
.LBB17_217:
	v_cmp_gt_i16_e32 vcc, 5, v44
	s_cbranch_vccnz .LBB17_222
; %bb.218:
	v_cmp_gt_i16_e32 vcc, 8, v44
	s_cbranch_vccnz .LBB17_223
; %bb.219:
	;; [unrolled: 3-line block ×3, first 2 shown]
	v_cmp_lt_i16_e32 vcc, 9, v44
	s_cbranch_vccz .LBB17_225
; %bb.221:
	global_load_dwordx2 v[0:1], v[2:3], off
	s_mov_b64 s[4:5], 0
	s_waitcnt vmcnt(0)
	v_cvt_f32_f64_e32 v0, v[0:1]
	s_branch .LBB17_226
.LBB17_222:
                                        ; implicit-def: $vgpr0
	s_branch .LBB17_244
.LBB17_223:
	s_mov_b64 s[4:5], -1
                                        ; implicit-def: $vgpr0
	s_branch .LBB17_232
.LBB17_224:
	s_mov_b64 s[4:5], -1
                                        ; implicit-def: $vgpr0
	s_branch .LBB17_229
.LBB17_225:
	s_mov_b64 s[4:5], -1
                                        ; implicit-def: $vgpr0
.LBB17_226:
	s_andn2_b64 vcc, exec, s[4:5]
	s_cbranch_vccnz .LBB17_228
; %bb.227:
	global_load_dword v0, v[2:3], off
.LBB17_228:
	s_mov_b64 s[4:5], 0
.LBB17_229:
	s_andn2_b64 vcc, exec, s[4:5]
	s_cbranch_vccnz .LBB17_231
; %bb.230:
	global_load_dword v0, v[2:3], off
	s_waitcnt vmcnt(0)
	v_cvt_f32_f16_e32 v0, v0
.LBB17_231:
	s_mov_b64 s[4:5], 0
.LBB17_232:
	s_andn2_b64 vcc, exec, s[4:5]
	s_cbranch_vccnz .LBB17_243
; %bb.233:
	v_cmp_gt_i16_e32 vcc, 6, v44
	s_cbranch_vccnz .LBB17_236
; %bb.234:
	v_cmp_lt_i16_e32 vcc, 6, v44
	s_cbranch_vccz .LBB17_237
; %bb.235:
	global_load_dwordx2 v[0:1], v[2:3], off
	s_mov_b64 s[4:5], 0
	s_waitcnt vmcnt(0)
	v_cvt_f32_f64_e32 v0, v[0:1]
	s_branch .LBB17_238
.LBB17_236:
	s_mov_b64 s[4:5], -1
                                        ; implicit-def: $vgpr0
	s_branch .LBB17_241
.LBB17_237:
	s_mov_b64 s[4:5], -1
                                        ; implicit-def: $vgpr0
.LBB17_238:
	s_andn2_b64 vcc, exec, s[4:5]
	s_cbranch_vccnz .LBB17_240
; %bb.239:
	global_load_dword v0, v[2:3], off
.LBB17_240:
	s_mov_b64 s[4:5], 0
.LBB17_241:
	s_andn2_b64 vcc, exec, s[4:5]
	s_cbranch_vccnz .LBB17_243
; %bb.242:
	global_load_ushort v0, v[2:3], off
	s_waitcnt vmcnt(0)
	v_cvt_f32_f16_e32 v0, v0
.LBB17_243:
	s_cbranch_execnz .LBB17_263
.LBB17_244:
	v_cmp_gt_i16_e32 vcc, 2, v44
	s_cbranch_vccnz .LBB17_248
; %bb.245:
	v_cmp_gt_i16_e32 vcc, 3, v44
	s_cbranch_vccnz .LBB17_249
; %bb.246:
	v_cmp_lt_i16_e32 vcc, 3, v44
	s_cbranch_vccz .LBB17_250
; %bb.247:
	global_load_dwordx2 v[0:1], v[2:3], off
	s_mov_b64 s[4:5], 0
	s_waitcnt vmcnt(0)
	v_xor_b32_e32 v5, v0, v1
	v_ffbh_i32_e32 v4, v1
	v_ashrrev_i32_e32 v5, 31, v5
	v_add_u32_e32 v4, -1, v4
	v_add_u32_e32 v5, 32, v5
	v_min_u32_e32 v4, v4, v5
	v_lshlrev_b64 v[0:1], v4, v[0:1]
	v_min_u32_e32 v0, 1, v0
	v_or_b32_e32 v0, v1, v0
	v_cvt_f32_i32_e32 v0, v0
	v_sub_u32_e32 v1, 32, v4
	v_ldexp_f32 v0, v0, v1
	s_branch .LBB17_251
.LBB17_248:
	s_mov_b64 s[4:5], -1
                                        ; implicit-def: $vgpr0
	s_branch .LBB17_257
.LBB17_249:
	s_mov_b64 s[4:5], -1
                                        ; implicit-def: $vgpr0
	s_branch .LBB17_254
.LBB17_250:
	s_mov_b64 s[4:5], -1
                                        ; implicit-def: $vgpr0
.LBB17_251:
	s_andn2_b64 vcc, exec, s[4:5]
	s_cbranch_vccnz .LBB17_253
; %bb.252:
	global_load_dword v0, v[2:3], off
	s_waitcnt vmcnt(0)
	v_cvt_f32_i32_e32 v0, v0
.LBB17_253:
	s_mov_b64 s[4:5], 0
.LBB17_254:
	s_andn2_b64 vcc, exec, s[4:5]
	s_cbranch_vccnz .LBB17_256
; %bb.255:
	global_load_sshort v0, v[2:3], off
	s_waitcnt vmcnt(0)
	v_cvt_f32_i32_e32 v0, v0
.LBB17_256:
	s_mov_b64 s[4:5], 0
.LBB17_257:
	s_andn2_b64 vcc, exec, s[4:5]
	s_cbranch_vccnz .LBB17_263
; %bb.258:
	v_cmp_lt_i16_e32 vcc, 0, v44
	s_cbranch_vccz .LBB17_260
; %bb.259:
	global_load_sbyte v0, v[2:3], off
	s_mov_b64 s[4:5], 0
	s_waitcnt vmcnt(0)
	v_cvt_f32_i32_e32 v0, v0
	s_branch .LBB17_261
.LBB17_260:
	s_mov_b64 s[4:5], -1
                                        ; implicit-def: $vgpr0
.LBB17_261:
	s_andn2_b64 vcc, exec, s[4:5]
	s_cbranch_vccnz .LBB17_263
; %bb.262:
	global_load_ubyte v0, v[2:3], off
	s_waitcnt vmcnt(0)
	v_cvt_f32_ubyte0_e32 v0, v0
.LBB17_263:
	s_branch .LBB17_26
.LBB17_264:
	s_mov_b64 s[4:5], 0
.LBB17_265:
	s_mov_b64 s[6:7], 0
                                        ; implicit-def: $vgpr45
.LBB17_266:
	s_and_b64 s[66:67], s[4:5], exec
	s_and_b64 s[68:69], s[68:69], exec
	s_orn2_b64 s[6:7], s[6:7], exec
.LBB17_267:
	s_or_b64 exec, exec, s[70:71]
	s_mov_b64 s[8:9], 0
	s_mov_b64 s[4:5], 0
                                        ; implicit-def: $vgpr2_vgpr3
                                        ; implicit-def: $vgpr42
                                        ; implicit-def: $vgpr1
	s_and_saveexec_b64 s[70:71], s[6:7]
	s_cbranch_execz .LBB17_275
; %bb.268:
	v_cmp_gt_i32_e32 vcc, s84, v45
	s_mov_b64 s[4:5], -1
	s_mov_b64 s[72:73], s[68:69]
	s_mov_b64 s[74:75], s[66:67]
	s_and_saveexec_b64 s[76:77], vcc
	s_cbranch_execz .LBB17_544
; %bb.269:
	s_andn2_b64 vcc, exec, s[54:55]
	s_cbranch_vccnz .LBB17_278
; %bb.270:
	s_mov_b32 s24, 0
	s_andn2_b64 vcc, exec, s[64:65]
	s_waitcnt vmcnt(0)
	v_mov_b32_e32 v0, 0
	v_mov_b32_e32 v42, 0
	s_cbranch_vccnz .LBB17_284
; %bb.271:
	s_add_i32 s30, s85, 1
	s_cmp_eq_u32 s83, 2
	s_cbranch_scc1 .LBB17_279
; %bb.272:
	s_and_b32 s24, s30, 28
	s_mov_b32 s25, 0
	v_mov_b32_e32 v42, 0
	s_mov_b64 s[26:27], s[38:39]
	s_mov_b64 s[28:29], s[62:63]
	v_mov_b32_e32 v1, v45
	v_mov_b32_e32 v0, 0
.LBB17_273:                             ; =>This Inner Loop Header: Depth=1
	s_load_dwordx8 s[12:19], s[26:27], 0x4
	s_load_dwordx4 s[20:23], s[26:27], 0x24
	s_load_dwordx8 s[4:11], s[28:29], 0x0
	s_add_u32 s26, s26, 48
	s_addc_u32 s27, s27, 0
	s_waitcnt lgkmcnt(0)
	v_mul_hi_u32 v2, s13, v1
	v_add_u32_e32 v2, v1, v2
	v_lshrrev_b32_e32 v2, s14, v2
	v_mul_lo_u32 v3, v2, s12
	v_mul_hi_u32 v4, s16, v2
	v_sub_u32_e32 v1, v1, v3
	v_add_u32_e32 v3, v2, v4
	v_lshrrev_b32_e32 v3, s17, v3
	v_mul_lo_u32 v5, v3, s15
	v_mul_hi_u32 v6, s19, v3
	v_sub_u32_e32 v2, v2, v5
	v_add_u32_e32 v5, v3, v6
	v_mul_lo_u32 v4, v1, s5
	v_mul_lo_u32 v1, v1, s4
	;; [unrolled: 1-line block ×4, first 2 shown]
	v_lshrrev_b32_e32 v5, s20, v5
	v_add3_u32 v2, v1, v42, v2
	v_add3_u32 v0, v4, v0, v6
	v_mul_lo_u32 v1, v5, s18
	v_mul_hi_u32 v4, s22, v5
	v_sub_u32_e32 v1, v3, v1
	v_add_u32_e32 v3, v5, v4
	v_mul_lo_u32 v4, v1, s8
	v_mul_lo_u32 v6, v1, s9
	v_lshrrev_b32_e32 v1, s23, v3
	s_add_i32 s25, s25, 4
	v_mul_lo_u32 v3, v1, s21
	s_add_u32 s28, s28, 32
	v_sub_u32_e32 v3, v5, v3
	s_addc_u32 s29, s29, 0
	v_mul_lo_u32 v5, v3, s10
	v_mul_lo_u32 v3, v3, s11
	s_cmp_eq_u32 s24, s25
	v_add3_u32 v0, v6, v0, v3
	v_add3_u32 v42, v4, v2, v5
	s_cbranch_scc0 .LBB17_273
; %bb.274:
	v_mov_b32_e32 v43, v0
	s_branch .LBB17_280
.LBB17_275:
	s_or_b64 exec, exec, s[70:71]
	s_waitcnt lgkmcnt(0)
	s_mov_b64 s[42:43], 0
	s_and_saveexec_b64 s[6:7], s[68:69]
	s_cbranch_execnz .LBB17_922
.LBB17_276:
	s_or_b64 exec, exec, s[6:7]
	s_and_saveexec_b64 s[6:7], s[74:75]
	s_xor_b64 s[6:7], exec, s[6:7]
	s_cbranch_execz .LBB17_923
.LBB17_277:
	global_load_ubyte v0, v[2:3], off
	s_or_b64 s[4:5], s[4:5], exec
	s_waitcnt vmcnt(0)
	v_cmp_ne_u16_e32 vcc, 0, v0
	v_cndmask_b32_e64 v1, 0, 1.0, vcc
	s_or_b64 exec, exec, s[6:7]
	s_and_saveexec_b64 s[6:7], s[8:9]
	s_cbranch_execz .LBB17_969
	s_branch .LBB17_924
.LBB17_278:
                                        ; implicit-def: $vgpr0
                                        ; implicit-def: $vgpr42
	s_andn2_b64 vcc, exec, s[4:5]
	s_cbranch_vccz .LBB17_285
	s_branch .LBB17_287
.LBB17_279:
	s_mov_b32 s25, s24
	v_pk_mov_b32 v[42:43], s[24:25], s[24:25] op_sel:[0,1]
                                        ; implicit-def: $vgpr0
	v_mov_b32_e32 v1, v45
.LBB17_280:
	s_and_b32 s8, s30, 3
	s_cmp_eq_u32 s8, 0
	s_cbranch_scc1 .LBB17_284
; %bb.281:
	s_lshl_b32 s4, s24, 3
	s_add_u32 s4, s4, s38
	s_addc_u32 s5, s39, 0
	s_add_u32 s4, s4, 0xc4
	s_addc_u32 s5, s5, 0
	s_mul_i32 s6, s24, 12
	s_add_u32 s6, s38, s6
	s_addc_u32 s7, s39, 0
.LBB17_282:                             ; =>This Inner Loop Header: Depth=1
	s_load_dwordx2 s[10:11], s[6:7], 0x4
	s_load_dword s9, s[6:7], 0xc
	s_load_dwordx2 s[12:13], s[4:5], 0x0
	s_add_u32 s6, s6, 12
	s_addc_u32 s7, s7, 0
	s_waitcnt lgkmcnt(0)
	v_mul_hi_u32 v2, s11, v1
	v_add_u32_e32 v2, v1, v2
	v_lshrrev_b32_e32 v2, s9, v2
	v_mul_lo_u32 v3, v2, s10
	v_mov_b32_e32 v0, v43
	s_add_u32 s4, s4, 8
	v_sub_u32_e32 v4, v1, v3
	v_mov_b32_e32 v1, v2
	s_addc_u32 s5, s5, 0
	s_add_i32 s8, s8, -1
	v_mad_u64_u32 v[2:3], s[10:11], v4, s13, v[0:1]
	v_mad_u64_u32 v[42:43], s[10:11], v4, s12, v[42:43]
	s_cmp_lg_u32 s8, 0
	v_mov_b32_e32 v43, v2
	s_cbranch_scc1 .LBB17_282
; %bb.283:
	v_mov_b32_e32 v0, v43
.LBB17_284:
	s_cbranch_execnz .LBB17_287
.LBB17_285:
	s_waitcnt vmcnt(0) lgkmcnt(0)
	v_mul_hi_u32 v0, s49, v45
	v_add_u32_e32 v0, v45, v0
	v_lshrrev_b32_e32 v1, s50, v0
	v_mul_lo_u32 v0, v1, s48
	v_sub_u32_e32 v2, v45, v0
	v_mul_lo_u32 v0, v2, s45
	s_andn2_b64 vcc, exec, s[60:61]
	v_mul_lo_u32 v42, v2, s44
	s_cbranch_vccnz .LBB17_287
; %bb.286:
	v_mul_hi_u32 v2, s58, v1
	v_add_u32_e32 v2, v1, v2
	v_lshrrev_b32_e32 v2, s59, v2
	v_mul_lo_u32 v2, v2, s51
	v_sub_u32_e32 v1, v1, v2
	v_mad_u64_u32 v[42:43], s[4:5], v1, s46, v[42:43]
	v_mad_u64_u32 v[0:1], s[4:5], v1, s47, v[0:1]
.LBB17_287:
	s_waitcnt lgkmcnt(0)
	v_mov_b32_e32 v1, s43
	s_waitcnt vmcnt(0)
	v_add_co_u32_e32 v2, vcc, s42, v0
	v_addc_co_u32_e32 v3, vcc, 0, v1, vcc
	v_cmp_gt_i16_e32 vcc, 11, v44
	s_cbranch_vccnz .LBB17_294
; %bb.288:
	v_cmp_lt_i16_e32 vcc, 25, v44
	s_cbranch_vccz .LBB17_303
; %bb.289:
	v_cmp_lt_i16_e32 vcc, 28, v44
	s_cbranch_vccz .LBB17_305
	;; [unrolled: 3-line block ×4, first 2 shown]
; %bb.292:
	v_cmp_eq_u16_e32 vcc, 46, v44
	s_mov_b64 s[6:7], 0
	s_cbranch_vccz .LBB17_315
; %bb.293:
	global_load_dword v0, v[2:3], off
	s_mov_b64 s[4:5], -1
	s_mov_b64 s[72:73], 0
	s_waitcnt vmcnt(0)
	v_lshlrev_b32_e32 v0, 16, v0
	s_branch .LBB17_316
.LBB17_294:
	s_mov_b64 s[4:5], 0
                                        ; implicit-def: $vgpr0
	s_mov_b64 s[72:73], s[68:69]
	s_cbranch_execnz .LBB17_493
.LBB17_295:
	s_andn2_b64 vcc, exec, s[4:5]
	s_cbranch_vccnz .LBB17_541
.LBB17_296:
	s_getpc_b64 s[4:5]
	s_add_u32 s4, s4, _Z17bessel_j1_forwardIfET_S0_@rel32@lo+4
	s_addc_u32 s5, s5, _Z17bessel_j1_forwardIfET_S0_@rel32@hi+12
	s_swappc_b64 s[30:31], s[4:5]
	v_mov_b32_e32 v1, s41
	v_add_co_u32_e32 v2, vcc, s40, v42
	v_addc_co_u32_e32 v3, vcc, 0, v1, vcc
	v_mov_b32_e32 v1, 11
	v_cmp_lt_i16_sdwa s[4:5], v41, v1 src0_sel:BYTE_0 src1_sel:DWORD
	s_and_b64 vcc, exec, s[4:5]
	s_cbranch_vccnz .LBB17_304
; %bb.297:
	v_mov_b32_e32 v1, 25
	v_cmp_gt_i16_sdwa s[4:5], v41, v1 src0_sel:BYTE_0 src1_sel:DWORD
	s_and_b64 vcc, exec, s[4:5]
	s_cbranch_vccz .LBB17_306
; %bb.298:
	v_mov_b32_e32 v1, 28
	v_cmp_gt_i16_sdwa s[4:5], v41, v1 src0_sel:BYTE_0 src1_sel:DWORD
	s_and_b64 vcc, exec, s[4:5]
	s_cbranch_vccz .LBB17_308
	;; [unrolled: 5-line block ×4, first 2 shown]
; %bb.301:
	v_mov_b32_e32 v1, 46
	v_cmp_eq_u16_sdwa s[6:7], v41, v1 src0_sel:BYTE_0 src1_sel:DWORD
	s_mov_b64 s[8:9], 0
	s_mov_b64 s[4:5], -1
	s_and_b64 vcc, exec, s[6:7]
	s_mov_b64 s[6:7], 0
	s_cbranch_vccz .LBB17_320
; %bb.302:
	v_bfe_u32 v1, v0, 16, 1
	s_movk_i32 s4, 0x7fff
	v_add3_u32 v1, v0, v1, s4
	v_lshrrev_b32_e32 v1, 16, v1
	v_mov_b32_e32 v4, 0x7fc0
	v_cmp_o_f32_e32 vcc, v0, v0
	v_cndmask_b32_e32 v1, v4, v1, vcc
	global_store_dword v[2:3], v1, off
	s_mov_b64 s[6:7], -1
	s_mov_b64 s[4:5], 0
	s_branch .LBB17_320
.LBB17_303:
	s_mov_b64 s[6:7], -1
	s_mov_b64 s[4:5], 0
	s_mov_b64 s[72:73], s[68:69]
                                        ; implicit-def: $vgpr0
	s_branch .LBB17_457
.LBB17_304:
	s_mov_b64 s[8:9], -1
	s_mov_b64 s[6:7], 0
	s_mov_b64 s[4:5], s[66:67]
	s_branch .LBB17_389
.LBB17_305:
	s_mov_b64 s[6:7], -1
	s_mov_b64 s[4:5], 0
	s_mov_b64 s[72:73], s[68:69]
                                        ; implicit-def: $vgpr0
	s_branch .LBB17_438
.LBB17_306:
	s_mov_b64 s[8:9], -1
	s_mov_b64 s[6:7], 0
	s_mov_b64 s[4:5], s[66:67]
	s_branch .LBB17_347
.LBB17_307:
	s_mov_b64 s[6:7], -1
	s_mov_b64 s[4:5], 0
	s_mov_b64 s[72:73], s[68:69]
                                        ; implicit-def: $vgpr0
	s_branch .LBB17_433
.LBB17_308:
	s_mov_b64 s[8:9], -1
	s_mov_b64 s[6:7], 0
	s_mov_b64 s[4:5], s[66:67]
	s_branch .LBB17_330
.LBB17_309:
	s_or_saveexec_b64 s[10:11], s[10:11]
                                        ; implicit-def: $sgpr12
	s_xor_b64 exec, exec, s[10:11]
	s_cbranch_execz .LBB17_69
.LBB17_310:
	s_mov_b32 s12, 0x46000000
	v_add_f32_e64 v1, |v0|, s12
	v_and_b32_e32 v1, 0xff, v1
	v_cmp_ne_u32_e32 vcc, 0, v1
	s_andn2_b64 s[8:9], s[8:9], exec
	s_and_b64 s[14:15], vcc, exec
	s_mov_b32 s12, 0
	s_or_b64 s[8:9], s[8:9], s[14:15]
	s_or_b64 exec, exec, s[10:11]
	v_mov_b32_e32 v4, s12
	s_and_saveexec_b64 s[10:11], s[8:9]
	s_cbranch_execnz .LBB17_70
	s_branch .LBB17_71
.LBB17_311:
	s_mov_b64 s[6:7], -1
	s_mov_b64 s[4:5], 0
	s_mov_b64 s[72:73], s[68:69]
                                        ; implicit-def: $vgpr0
	s_branch .LBB17_316
.LBB17_312:
	s_mov_b64 s[8:9], -1
	s_mov_b64 s[6:7], 0
	s_mov_b64 s[4:5], s[66:67]
	s_branch .LBB17_326
.LBB17_313:
	s_or_saveexec_b64 s[10:11], s[10:11]
                                        ; implicit-def: $sgpr12
	s_xor_b64 exec, exec, s[10:11]
	s_cbranch_execz .LBB17_82
.LBB17_314:
	s_mov_b32 s12, 0x42800000
	v_add_f32_e64 v1, |v0|, s12
	v_and_b32_e32 v1, 0xff, v1
	v_cmp_ne_u32_e32 vcc, 0, v1
	s_andn2_b64 s[8:9], s[8:9], exec
	s_and_b64 s[14:15], vcc, exec
	s_mov_b32 s12, 0
	s_or_b64 s[8:9], s[8:9], s[14:15]
	s_or_b64 exec, exec, s[10:11]
	v_mov_b32_e32 v4, s12
	s_and_saveexec_b64 s[10:11], s[8:9]
	s_cbranch_execnz .LBB17_83
	s_branch .LBB17_84
.LBB17_315:
	s_mov_b64 s[72:73], -1
                                        ; implicit-def: $vgpr0
	s_mov_b64 s[4:5], 0
.LBB17_316:
	s_and_b64 vcc, exec, s[6:7]
	s_cbranch_vccz .LBB17_432
; %bb.317:
	v_cmp_eq_u16_e32 vcc, 44, v44
	s_cbranch_vccz .LBB17_431
; %bb.318:
	global_load_ubyte v0, v[2:3], off
	s_movk_i32 s6, 0xff
	v_mov_b32_e32 v1, 0x7f800001
	v_mov_b32_e32 v4, 0x400000
	s_mov_b64 s[4:5], -1
	s_mov_b64 s[72:73], 0
	s_waitcnt vmcnt(0)
	v_lshlrev_b32_e32 v5, 23, v0
	v_cmp_ne_u32_e32 vcc, s6, v0
	v_cndmask_b32_e32 v1, v1, v5, vcc
	v_cmp_ne_u32_e32 vcc, 0, v0
	v_cndmask_b32_e32 v0, v4, v1, vcc
	s_branch .LBB17_432
.LBB17_319:
	s_mov_b64 s[8:9], -1
	s_mov_b64 s[6:7], 0
	s_mov_b64 s[4:5], s[66:67]
.LBB17_320:
	s_and_b64 vcc, exec, s[8:9]
	s_cbranch_vccz .LBB17_325
; %bb.321:
	v_mov_b32_e32 v1, 44
	v_cmp_eq_u16_sdwa s[8:9], v41, v1 src0_sel:BYTE_0 src1_sel:DWORD
	s_mov_b64 s[4:5], -1
	s_and_b64 vcc, exec, s[8:9]
	s_cbranch_vccz .LBB17_325
; %bb.322:
	v_bfe_u32 v1, v0, 23, 8
	s_movk_i32 s4, 0xff
	v_cmp_ne_u32_e32 vcc, s4, v1
	v_mov_b32_e32 v4, 0xff
	s_and_saveexec_b64 s[6:7], vcc
; %bb.323:
	s_mov_b32 s4, 0x3fffff
	v_and_b32_e32 v5, 0x400000, v0
	v_and_or_b32 v1, v0, s4, v1
	v_cmp_ne_u32_e32 vcc, 0, v5
	v_cmp_ne_u32_e64 s[4:5], 0, v1
	s_and_b64 s[4:5], vcc, s[4:5]
	v_lshrrev_b32_e32 v4, 23, v0
	v_cndmask_b32_e64 v1, 0, 1, s[4:5]
	v_add_u32_e32 v4, v4, v1
; %bb.324:
	s_or_b64 exec, exec, s[6:7]
	s_mov_b64 s[6:7], -1
	s_mov_b64 s[4:5], 0
	global_store_byte v[2:3], v4, off
.LBB17_325:
	s_mov_b64 s[8:9], 0
.LBB17_326:
	s_and_b64 vcc, exec, s[8:9]
	s_cbranch_vccz .LBB17_329
; %bb.327:
	v_mov_b32_e32 v1, 29
	v_cmp_eq_u16_sdwa s[8:9], v41, v1 src0_sel:BYTE_0 src1_sel:DWORD
	s_mov_b64 s[4:5], -1
	s_and_b64 vcc, exec, s[8:9]
	s_cbranch_vccz .LBB17_329
; %bb.328:
	v_trunc_f32_e32 v1, v0
	v_mul_f32_e32 v4, 0x2f800000, v1
	v_floor_f32_e32 v4, v4
	v_fmac_f32_e32 v1, 0xcf800000, v4
	v_cvt_u32_f32_e32 v5, v4
	v_cvt_u32_f32_e32 v4, v1
	s_mov_b64 s[6:7], -1
	s_mov_b64 s[4:5], 0
	s_mov_b64 s[8:9], 0
	global_store_dwordx2 v[2:3], v[4:5], off
	s_branch .LBB17_330
.LBB17_329:
	s_mov_b64 s[8:9], 0
.LBB17_330:
	s_and_b64 vcc, exec, s[8:9]
	s_cbranch_vccz .LBB17_346
; %bb.331:
	v_mov_b32_e32 v1, 27
	v_cmp_lt_i16_sdwa s[8:9], v41, v1 src0_sel:BYTE_0 src1_sel:DWORD
	s_mov_b64 s[6:7], -1
	s_and_b64 vcc, exec, s[8:9]
	s_cbranch_vccnz .LBB17_337
; %bb.332:
	v_cmp_gt_i16_sdwa s[8:9], v41, v1 src0_sel:BYTE_0 src1_sel:DWORD
	v_cvt_u32_f32_e32 v1, v0
	s_and_b64 vcc, exec, s[8:9]
	s_cbranch_vccz .LBB17_334
; %bb.333:
	s_mov_b64 s[6:7], 0
	global_store_dword v[2:3], v1, off
.LBB17_334:
	s_andn2_b64 vcc, exec, s[6:7]
	s_cbranch_vccnz .LBB17_336
; %bb.335:
	global_store_short v[2:3], v1, off
.LBB17_336:
	s_mov_b64 s[6:7], 0
.LBB17_337:
	s_andn2_b64 vcc, exec, s[6:7]
	s_cbranch_vccnz .LBB17_345
; %bb.338:
	v_and_b32_e32 v1, 0x7fffffff, v0
	s_mov_b32 s6, 0x43800000
	v_cmp_gt_u32_e32 vcc, s6, v1
	v_mov_b32_e32 v4, 0x80
	s_and_saveexec_b64 s[6:7], vcc
	s_cbranch_execz .LBB17_344
; %bb.339:
	s_mov_b32 s8, 0x3bffffff
	v_cmp_lt_u32_e32 vcc, s8, v1
	s_mov_b64 s[8:9], 0
                                        ; implicit-def: $vgpr1
	s_and_saveexec_b64 s[10:11], vcc
	s_xor_b64 s[10:11], exec, s[10:11]
	s_cbranch_execz .LBB17_573
; %bb.340:
	v_bfe_u32 v1, v0, 20, 1
	s_mov_b32 s12, 0x487ffff
	v_add3_u32 v1, v0, v1, s12
	s_mov_b64 s[8:9], exec
	v_lshrrev_b32_e32 v1, 20, v1
	s_or_saveexec_b64 s[10:11], s[10:11]
                                        ; implicit-def: $sgpr12
	s_xor_b64 exec, exec, s[10:11]
	s_cbranch_execnz .LBB17_574
.LBB17_341:
	s_or_b64 exec, exec, s[10:11]
	v_mov_b32_e32 v4, s12
	s_and_saveexec_b64 s[10:11], s[8:9]
.LBB17_342:
	v_lshrrev_b32_e32 v4, 24, v0
	s_movk_i32 s8, 0x80
	v_and_or_b32 v4, v4, s8, v1
.LBB17_343:
	s_or_b64 exec, exec, s[10:11]
.LBB17_344:
	s_or_b64 exec, exec, s[6:7]
	global_store_byte v[2:3], v4, off
.LBB17_345:
	s_mov_b64 s[6:7], -1
.LBB17_346:
	s_mov_b64 s[8:9], 0
.LBB17_347:
	s_and_b64 vcc, exec, s[8:9]
	s_cbranch_vccz .LBB17_388
; %bb.348:
	v_mov_b32_e32 v1, 22
	v_cmp_gt_i16_sdwa s[10:11], v41, v1 src0_sel:BYTE_0 src1_sel:DWORD
	s_mov_b64 s[8:9], -1
	s_and_b64 vcc, exec, s[10:11]
	s_cbranch_vccz .LBB17_380
; %bb.349:
	v_mov_b32_e32 v1, 24
	v_cmp_lt_i16_sdwa s[8:9], v41, v1 src0_sel:BYTE_0 src1_sel:DWORD
	s_mov_b64 s[6:7], -1
	s_and_b64 vcc, exec, s[8:9]
	s_cbranch_vccnz .LBB17_369
; %bb.350:
	v_cmp_gt_i16_sdwa s[8:9], v41, v1 src0_sel:BYTE_0 src1_sel:DWORD
	s_and_b64 vcc, exec, s[8:9]
	s_cbranch_vccz .LBB17_358
; %bb.351:
	v_and_b32_e32 v1, 0x7fffffff, v0
	s_mov_b32 s6, 0x47800000
	v_cmp_gt_u32_e32 vcc, s6, v1
	v_mov_b32_e32 v4, 0x80
	s_and_saveexec_b64 s[6:7], vcc
	s_cbranch_execz .LBB17_357
; %bb.352:
	s_mov_b32 s8, 0x37ffffff
	v_cmp_lt_u32_e32 vcc, s8, v1
	s_mov_b64 s[8:9], 0
                                        ; implicit-def: $vgpr1
	s_and_saveexec_b64 s[10:11], vcc
	s_xor_b64 s[10:11], exec, s[10:11]
	s_cbranch_execz .LBB17_576
; %bb.353:
	v_bfe_u32 v1, v0, 21, 1
	s_mov_b32 s12, 0x88fffff
	v_add3_u32 v1, v0, v1, s12
	s_mov_b64 s[8:9], exec
	v_lshrrev_b32_e32 v1, 21, v1
	s_or_saveexec_b64 s[10:11], s[10:11]
                                        ; implicit-def: $sgpr12
	s_xor_b64 exec, exec, s[10:11]
	s_cbranch_execnz .LBB17_577
.LBB17_354:
	s_or_b64 exec, exec, s[10:11]
	v_mov_b32_e32 v4, s12
	s_and_saveexec_b64 s[10:11], s[8:9]
.LBB17_355:
	v_lshrrev_b32_e32 v4, 24, v0
	s_movk_i32 s8, 0x80
	v_and_or_b32 v4, v4, s8, v1
.LBB17_356:
	s_or_b64 exec, exec, s[10:11]
.LBB17_357:
	s_or_b64 exec, exec, s[6:7]
	s_mov_b64 s[6:7], 0
	global_store_byte v[2:3], v4, off
.LBB17_358:
	s_and_b64 vcc, exec, s[6:7]
	s_cbranch_vccz .LBB17_368
; %bb.359:
	v_and_b32_e32 v4, 0x7fffffff, v0
	s_mov_b32 s6, 0x43f00000
	v_cmp_gt_u32_e32 vcc, s6, v4
                                        ; implicit-def: $vgpr1
	s_and_saveexec_b64 s[6:7], vcc
	s_xor_b64 s[6:7], exec, s[6:7]
	s_cbranch_execz .LBB17_365
; %bb.360:
	s_mov_b32 s8, 0x3c7fffff
	v_cmp_lt_u32_e32 vcc, s8, v4
                                        ; implicit-def: $vgpr1
	s_and_saveexec_b64 s[8:9], vcc
	s_xor_b64 s[8:9], exec, s[8:9]
; %bb.361:
	v_bfe_u32 v1, v0, 20, 1
	s_mov_b32 s10, 0x407ffff
	v_add3_u32 v1, v0, v1, s10
	v_lshrrev_b32_e32 v4, 20, v1
	v_and_b32_e32 v1, 0xff00000, v1
	s_mov_b32 s10, 0x7f00000
	v_mov_b32_e32 v5, 0x7e
	v_cmp_ne_u32_e32 vcc, s10, v1
	v_cndmask_b32_e32 v1, v5, v4, vcc
; %bb.362:
	s_andn2_saveexec_b64 s[8:9], s[8:9]
; %bb.363:
	s_mov_b32 s10, 0x46800000
	v_add_f32_e64 v1, |v0|, s10
; %bb.364:
	s_or_b64 exec, exec, s[8:9]
                                        ; implicit-def: $vgpr4
.LBB17_365:
	s_andn2_saveexec_b64 s[6:7], s[6:7]
; %bb.366:
	s_mov_b32 s8, 0x7f800000
	v_mov_b32_e32 v1, 0x7e
	v_mov_b32_e32 v5, 0x7f
	v_cmp_lt_u32_e32 vcc, s8, v4
	v_cndmask_b32_e32 v1, v1, v5, vcc
; %bb.367:
	s_or_b64 exec, exec, s[6:7]
	v_lshrrev_b32_e32 v4, 24, v0
	s_movk_i32 s6, 0x80
	v_and_or_b32 v1, v4, s6, v1
	global_store_byte v[2:3], v1, off
.LBB17_368:
	s_mov_b64 s[6:7], 0
.LBB17_369:
	s_andn2_b64 vcc, exec, s[6:7]
	s_cbranch_vccnz .LBB17_379
; %bb.370:
	v_and_b32_e32 v4, 0x7fffffff, v0
	s_mov_b32 s6, 0x47800000
	v_cmp_gt_u32_e32 vcc, s6, v4
                                        ; implicit-def: $vgpr1
	s_and_saveexec_b64 s[6:7], vcc
	s_xor_b64 s[6:7], exec, s[6:7]
	s_cbranch_execz .LBB17_376
; %bb.371:
	s_mov_b32 s8, 0x387fffff
	v_cmp_lt_u32_e32 vcc, s8, v4
                                        ; implicit-def: $vgpr1
	s_and_saveexec_b64 s[8:9], vcc
	s_xor_b64 s[8:9], exec, s[8:9]
; %bb.372:
	v_bfe_u32 v1, v0, 21, 1
	s_mov_b32 s10, 0x80fffff
	v_add3_u32 v1, v0, v1, s10
	v_lshrrev_b32_e32 v1, 21, v1
; %bb.373:
	s_andn2_saveexec_b64 s[8:9], s[8:9]
; %bb.374:
	s_mov_b32 s10, 0x43000000
	v_add_f32_e64 v1, |v0|, s10
; %bb.375:
	s_or_b64 exec, exec, s[8:9]
                                        ; implicit-def: $vgpr4
.LBB17_376:
	s_andn2_saveexec_b64 s[6:7], s[6:7]
; %bb.377:
	s_mov_b32 s8, 0x7f800000
	v_mov_b32_e32 v1, 0x7c
	v_mov_b32_e32 v5, 0x7f
	v_cmp_lt_u32_e32 vcc, s8, v4
	v_cndmask_b32_e32 v1, v1, v5, vcc
; %bb.378:
	s_or_b64 exec, exec, s[6:7]
	v_lshrrev_b32_e32 v4, 24, v0
	s_movk_i32 s6, 0x80
	v_and_or_b32 v1, v4, s6, v1
	global_store_byte v[2:3], v1, off
.LBB17_379:
	s_mov_b64 s[8:9], 0
	s_mov_b64 s[6:7], -1
.LBB17_380:
	s_andn2_b64 vcc, exec, s[8:9]
	s_cbranch_vccnz .LBB17_388
; %bb.381:
	v_mov_b32_e32 v1, 14
	v_cmp_gt_i16_sdwa s[10:11], v41, v1 src0_sel:BYTE_0 src1_sel:DWORD
	s_mov_b64 s[8:9], -1
	s_and_b64 vcc, exec, s[10:11]
	s_cbranch_vccz .LBB17_385
; %bb.382:
	v_mov_b32_e32 v1, 15
	v_cmp_eq_u16_sdwa s[8:9], v41, v1 src0_sel:BYTE_0 src1_sel:DWORD
	s_mov_b64 s[4:5], -1
	s_and_b64 vcc, exec, s[8:9]
	s_cbranch_vccz .LBB17_384
; %bb.383:
	v_bfe_u32 v1, v0, 16, 1
	s_movk_i32 s4, 0x7fff
	v_add3_u32 v1, v0, v1, s4
	v_lshrrev_b32_e32 v1, 16, v1
	v_mov_b32_e32 v4, 0x7fc0
	v_cmp_o_f32_e32 vcc, v0, v0
	v_cndmask_b32_e32 v1, v4, v1, vcc
	global_store_short v[2:3], v1, off
	s_mov_b64 s[6:7], -1
	s_mov_b64 s[4:5], 0
.LBB17_384:
	s_mov_b64 s[8:9], 0
.LBB17_385:
	s_and_b64 vcc, exec, s[8:9]
	s_cbranch_vccz .LBB17_388
; %bb.386:
	v_mov_b32_e32 v1, 11
	v_cmp_eq_u16_sdwa s[8:9], v41, v1 src0_sel:BYTE_0 src1_sel:DWORD
	s_mov_b64 s[4:5], -1
	s_and_b64 vcc, exec, s[8:9]
	s_cbranch_vccz .LBB17_388
; %bb.387:
	v_cmp_neq_f32_e32 vcc, 0, v0
	v_cndmask_b32_e64 v1, 0, 1, vcc
	s_mov_b64 s[6:7], -1
	s_mov_b64 s[4:5], 0
	global_store_byte v[2:3], v1, off
.LBB17_388:
	s_mov_b64 s[8:9], 0
.LBB17_389:
	s_and_b64 vcc, exec, s[8:9]
	s_cbranch_vccz .LBB17_428
; %bb.390:
	v_mov_b32_e32 v1, 5
	v_cmp_lt_i16_sdwa s[8:9], v41, v1 src0_sel:BYTE_0 src1_sel:DWORD
	s_mov_b64 s[6:7], -1
	s_and_b64 vcc, exec, s[8:9]
	s_cbranch_vccnz .LBB17_411
; %bb.391:
	v_mov_b32_e32 v1, 8
	v_cmp_lt_i16_sdwa s[8:9], v41, v1 src0_sel:BYTE_0 src1_sel:DWORD
	s_and_b64 vcc, exec, s[8:9]
	s_cbranch_vccnz .LBB17_401
; %bb.392:
	v_mov_b32_e32 v1, 9
	v_cmp_lt_i16_sdwa s[8:9], v41, v1 src0_sel:BYTE_0 src1_sel:DWORD
	s_and_b64 vcc, exec, s[8:9]
	s_cbranch_vccnz .LBB17_398
; %bb.393:
	v_cmp_gt_i16_sdwa s[8:9], v41, v1 src0_sel:BYTE_0 src1_sel:DWORD
	s_and_b64 vcc, exec, s[8:9]
	s_cbranch_vccz .LBB17_395
; %bb.394:
	v_mov_b32_e32 v6, 0
	v_cvt_f64_f32_e32 v[4:5], v0
	v_mov_b32_e32 v7, v6
	s_mov_b64 s[6:7], 0
	global_store_dwordx4 v[2:3], v[4:7], off
.LBB17_395:
	s_andn2_b64 vcc, exec, s[6:7]
	s_cbranch_vccnz .LBB17_397
; %bb.396:
	v_mov_b32_e32 v1, 0
	global_store_dwordx2 v[2:3], v[0:1], off
.LBB17_397:
	s_mov_b64 s[6:7], 0
.LBB17_398:
	s_andn2_b64 vcc, exec, s[6:7]
	s_cbranch_vccnz .LBB17_400
; %bb.399:
	v_cvt_f16_f32_e32 v1, v0
	global_store_dword v[2:3], v1, off
.LBB17_400:
	s_mov_b64 s[6:7], 0
.LBB17_401:
	s_andn2_b64 vcc, exec, s[6:7]
	s_cbranch_vccnz .LBB17_410
; %bb.402:
	v_mov_b32_e32 v1, 6
	v_cmp_lt_i16_sdwa s[8:9], v41, v1 src0_sel:BYTE_0 src1_sel:DWORD
	s_mov_b64 s[6:7], -1
	s_and_b64 vcc, exec, s[8:9]
	s_cbranch_vccnz .LBB17_408
; %bb.403:
	v_cmp_gt_i16_sdwa s[8:9], v41, v1 src0_sel:BYTE_0 src1_sel:DWORD
	s_and_b64 vcc, exec, s[8:9]
	s_cbranch_vccz .LBB17_405
; %bb.404:
	v_cvt_f64_f32_e32 v[4:5], v0
	s_mov_b64 s[6:7], 0
	global_store_dwordx2 v[2:3], v[4:5], off
.LBB17_405:
	s_andn2_b64 vcc, exec, s[6:7]
	s_cbranch_vccnz .LBB17_407
; %bb.406:
	global_store_dword v[2:3], v0, off
.LBB17_407:
	s_mov_b64 s[6:7], 0
.LBB17_408:
	s_andn2_b64 vcc, exec, s[6:7]
	s_cbranch_vccnz .LBB17_410
; %bb.409:
	v_cvt_f16_f32_e32 v1, v0
	global_store_short v[2:3], v1, off
.LBB17_410:
	s_mov_b64 s[6:7], 0
.LBB17_411:
	s_andn2_b64 vcc, exec, s[6:7]
	s_cbranch_vccnz .LBB17_427
; %bb.412:
	v_mov_b32_e32 v1, 2
	v_cmp_lt_i16_sdwa s[8:9], v41, v1 src0_sel:BYTE_0 src1_sel:DWORD
	s_mov_b64 s[6:7], -1
	s_and_b64 vcc, exec, s[8:9]
	s_cbranch_vccnz .LBB17_422
; %bb.413:
	v_mov_b32_e32 v1, 3
	v_cmp_lt_i16_sdwa s[8:9], v41, v1 src0_sel:BYTE_0 src1_sel:DWORD
	s_and_b64 vcc, exec, s[8:9]
	s_cbranch_vccnz .LBB17_419
; %bb.414:
	v_cmp_gt_i16_sdwa s[8:9], v41, v1 src0_sel:BYTE_0 src1_sel:DWORD
	s_and_b64 vcc, exec, s[8:9]
	s_cbranch_vccz .LBB17_416
; %bb.415:
	v_trunc_f32_e32 v1, v0
	s_mov_b32 s6, 0x2f800000
	v_mul_f32_e64 v4, |v1|, s6
	v_floor_f32_e32 v4, v4
	s_mov_b32 s6, 0xcf800000
	v_cvt_u32_f32_e32 v5, v4
	v_fma_f32 v4, v4, s6, |v1|
	v_cvt_u32_f32_e32 v4, v4
	v_ashrrev_i32_e32 v1, 31, v1
	v_xor_b32_e32 v5, v5, v1
	s_mov_b64 s[6:7], 0
	v_xor_b32_e32 v4, v4, v1
	v_sub_co_u32_e32 v4, vcc, v4, v1
	v_subb_co_u32_e32 v5, vcc, v5, v1, vcc
	global_store_dwordx2 v[2:3], v[4:5], off
.LBB17_416:
	s_andn2_b64 vcc, exec, s[6:7]
	s_cbranch_vccnz .LBB17_418
; %bb.417:
	v_cvt_i32_f32_e32 v1, v0
	global_store_dword v[2:3], v1, off
.LBB17_418:
	s_mov_b64 s[6:7], 0
.LBB17_419:
	s_andn2_b64 vcc, exec, s[6:7]
	s_cbranch_vccnz .LBB17_421
; %bb.420:
	v_cvt_i32_f32_e32 v1, v0
	global_store_short v[2:3], v1, off
.LBB17_421:
	s_mov_b64 s[6:7], 0
.LBB17_422:
	s_andn2_b64 vcc, exec, s[6:7]
	s_cbranch_vccnz .LBB17_427
; %bb.423:
	v_mov_b32_e32 v1, 0
	v_cmp_gt_i16_sdwa s[8:9], v41, v1 src0_sel:BYTE_0 src1_sel:DWORD
	s_mov_b64 s[6:7], -1
	s_and_b64 vcc, exec, s[8:9]
	s_cbranch_vccz .LBB17_425
; %bb.424:
	v_cvt_i32_f32_e32 v1, v0
	s_mov_b64 s[6:7], 0
	global_store_byte v[2:3], v1, off
.LBB17_425:
	s_andn2_b64 vcc, exec, s[6:7]
	s_cbranch_vccnz .LBB17_427
; %bb.426:
	v_trunc_f32_e32 v0, v0
	s_mov_b32 s6, 0x2f800000
	v_mul_f32_e64 v1, |v0|, s6
	v_floor_f32_e32 v1, v1
	s_mov_b32 s6, 0xcf800000
	v_fma_f32 v1, v1, s6, |v0|
	v_cvt_u32_f32_e32 v1, v1
	v_ashrrev_i32_e32 v0, 31, v0
	v_xor_b32_e32 v1, v1, v0
	v_sub_u32_e32 v0, v1, v0
	global_store_byte v[2:3], v0, off
.LBB17_427:
	s_mov_b64 s[6:7], -1
.LBB17_428:
	s_andn2_b64 vcc, exec, s[6:7]
	s_cbranch_vccnz .LBB17_430
; %bb.429:
	v_add_u32_e32 v45, 0x80, v45
	s_mov_b64 s[6:7], -1
	s_branch .LBB17_543
.LBB17_430:
	s_mov_b64 s[6:7], 0
	s_branch .LBB17_542
.LBB17_431:
	s_mov_b64 s[72:73], -1
                                        ; implicit-def: $vgpr0
.LBB17_432:
	s_mov_b64 s[6:7], 0
.LBB17_433:
	s_and_b64 vcc, exec, s[6:7]
	s_cbranch_vccz .LBB17_437
; %bb.434:
	v_cmp_eq_u16_e32 vcc, 29, v44
	s_cbranch_vccz .LBB17_436
; %bb.435:
	global_load_dwordx2 v[0:1], v[2:3], off
	s_mov_b64 s[4:5], -1
	s_mov_b64 s[72:73], 0
	s_mov_b64 s[6:7], 0
	s_waitcnt vmcnt(0)
	v_ffbh_u32_e32 v4, v1
	v_min_u32_e32 v4, 32, v4
	v_lshlrev_b64 v[0:1], v4, v[0:1]
	v_min_u32_e32 v0, 1, v0
	v_or_b32_e32 v0, v1, v0
	v_cvt_f32_u32_e32 v0, v0
	v_sub_u32_e32 v1, 32, v4
	v_ldexp_f32 v0, v0, v1
	s_branch .LBB17_438
.LBB17_436:
	s_mov_b64 s[72:73], -1
                                        ; implicit-def: $vgpr0
.LBB17_437:
	s_mov_b64 s[6:7], 0
.LBB17_438:
	s_and_b64 vcc, exec, s[6:7]
	s_cbranch_vccz .LBB17_456
; %bb.439:
	v_cmp_gt_i16_e32 vcc, 27, v44
	s_cbranch_vccnz .LBB17_442
; %bb.440:
	v_cmp_lt_i16_e32 vcc, 27, v44
	s_cbranch_vccz .LBB17_443
; %bb.441:
	global_load_dword v0, v[2:3], off
	s_mov_b64 s[4:5], 0
	s_waitcnt vmcnt(0)
	v_cvt_f32_u32_e32 v0, v0
	s_branch .LBB17_444
.LBB17_442:
	s_mov_b64 s[4:5], -1
                                        ; implicit-def: $vgpr0
	s_branch .LBB17_447
.LBB17_443:
	s_mov_b64 s[4:5], -1
                                        ; implicit-def: $vgpr0
.LBB17_444:
	s_andn2_b64 vcc, exec, s[4:5]
	s_cbranch_vccnz .LBB17_446
; %bb.445:
	global_load_ushort v0, v[2:3], off
	s_waitcnt vmcnt(0)
	v_cvt_f32_u32_e32 v0, v0
.LBB17_446:
	s_mov_b64 s[4:5], 0
.LBB17_447:
	s_andn2_b64 vcc, exec, s[4:5]
	s_cbranch_vccnz .LBB17_455
; %bb.448:
	global_load_ubyte v1, v[2:3], off
	s_movk_i32 s4, 0x7f
                                        ; implicit-def: $sgpr10
	s_waitcnt vmcnt(0)
	v_cmp_lt_i16_e32 vcc, s4, v1
	s_mov_b64 s[4:5], 0
	s_and_saveexec_b64 s[6:7], vcc
	s_xor_b64 s[6:7], exec, s[6:7]
	s_cbranch_execz .LBB17_469
; %bb.449:
	s_movk_i32 s4, 0x80
	v_cmp_eq_u16_e32 vcc, s4, v1
	s_mov_b64 s[4:5], -1
                                        ; implicit-def: $sgpr10
	s_and_saveexec_b64 s[8:9], vcc
; %bb.450:
	s_mov_b32 s10, 0x7f800001
	s_xor_b64 s[4:5], exec, -1
; %bb.451:
	s_or_b64 exec, exec, s[8:9]
	s_and_b64 s[4:5], s[4:5], exec
	s_or_saveexec_b64 s[6:7], s[6:7]
	v_mov_b32_e32 v0, s10
	s_xor_b64 exec, exec, s[6:7]
	s_cbranch_execnz .LBB17_470
.LBB17_452:
	s_or_b64 exec, exec, s[6:7]
	s_and_saveexec_b64 s[6:7], s[4:5]
	s_cbranch_execz .LBB17_454
.LBB17_453:
	v_lshlrev_b32_e32 v0, 24, v1
	v_and_b32_e32 v1, 0xffff, v1
	v_and_b32_e32 v4, 7, v1
	v_ffbh_u32_e32 v6, v4
	v_min_u32_e32 v6, 32, v6
	v_subrev_u32_e32 v7, 28, v6
	v_bfe_u32 v5, v1, 3, 4
	v_lshlrev_b32_e32 v1, v7, v1
	v_sub_u32_e32 v6, 29, v6
	v_and_b32_e32 v1, 7, v1
	v_cmp_eq_u32_e32 vcc, 0, v5
	v_cndmask_b32_e32 v5, v5, v6, vcc
	v_cndmask_b32_e32 v1, v4, v1, vcc
	v_mov_b32_e32 v4, 0x3b800000
	v_lshlrev_b32_e32 v1, 20, v1
	v_and_b32_e32 v0, 0x80000000, v0
	v_lshl_add_u32 v4, v5, 23, v4
	v_or3_b32 v0, v0, v4, v1
.LBB17_454:
	s_or_b64 exec, exec, s[6:7]
.LBB17_455:
	s_mov_b64 s[4:5], -1
.LBB17_456:
	s_mov_b64 s[6:7], 0
.LBB17_457:
	s_and_b64 vcc, exec, s[6:7]
	s_cbranch_vccz .LBB17_492
; %bb.458:
	v_cmp_lt_i16_e32 vcc, 22, v44
	s_cbranch_vccz .LBB17_468
; %bb.459:
	v_cmp_gt_i16_e32 vcc, 24, v44
	s_cbranch_vccnz .LBB17_471
; %bb.460:
	v_cmp_lt_i16_e32 vcc, 24, v44
	s_cbranch_vccz .LBB17_472
; %bb.461:
	global_load_ubyte v1, v[2:3], off
	s_movk_i32 s4, 0x7f
                                        ; implicit-def: $sgpr10
	s_waitcnt vmcnt(0)
	v_cmp_lt_i16_e32 vcc, s4, v1
	s_mov_b64 s[4:5], 0
	s_and_saveexec_b64 s[6:7], vcc
	s_xor_b64 s[6:7], exec, s[6:7]
	s_cbranch_execz .LBB17_484
; %bb.462:
	s_movk_i32 s4, 0x80
	v_cmp_eq_u16_e32 vcc, s4, v1
	s_mov_b64 s[4:5], -1
                                        ; implicit-def: $sgpr10
	s_and_saveexec_b64 s[8:9], vcc
; %bb.463:
	s_mov_b32 s10, 0x7f800001
	s_xor_b64 s[4:5], exec, -1
; %bb.464:
	s_or_b64 exec, exec, s[8:9]
	s_and_b64 s[4:5], s[4:5], exec
	s_or_saveexec_b64 s[6:7], s[6:7]
	v_mov_b32_e32 v0, s10
	s_xor_b64 exec, exec, s[6:7]
	s_cbranch_execnz .LBB17_485
.LBB17_465:
	s_or_b64 exec, exec, s[6:7]
	s_and_saveexec_b64 s[6:7], s[4:5]
	s_cbranch_execz .LBB17_467
.LBB17_466:
	v_lshlrev_b32_e32 v0, 24, v1
	v_and_b32_e32 v1, 0xffff, v1
	v_and_b32_e32 v4, 3, v1
	v_ffbh_u32_e32 v6, v4
	v_min_u32_e32 v6, 32, v6
	v_subrev_u32_e32 v7, 29, v6
	v_bfe_u32 v5, v1, 2, 5
	v_lshlrev_b32_e32 v1, v7, v1
	v_sub_u32_e32 v6, 30, v6
	v_and_b32_e32 v1, 3, v1
	v_cmp_eq_u32_e32 vcc, 0, v5
	v_cndmask_b32_e32 v5, v5, v6, vcc
	v_cndmask_b32_e32 v1, v4, v1, vcc
	v_mov_b32_e32 v4, 0x37800000
	v_lshlrev_b32_e32 v1, 21, v1
	v_and_b32_e32 v0, 0x80000000, v0
	v_lshl_add_u32 v4, v5, 23, v4
	v_or3_b32 v0, v0, v4, v1
.LBB17_467:
	s_or_b64 exec, exec, s[6:7]
	s_mov_b64 s[4:5], 0
	s_branch .LBB17_473
.LBB17_468:
	s_mov_b64 s[6:7], -1
                                        ; implicit-def: $vgpr0
	s_branch .LBB17_479
.LBB17_469:
	s_or_saveexec_b64 s[6:7], s[6:7]
	v_mov_b32_e32 v0, s10
	s_xor_b64 exec, exec, s[6:7]
	s_cbranch_execz .LBB17_452
.LBB17_470:
	v_cmp_ne_u16_e32 vcc, 0, v1
	s_andn2_b64 s[4:5], s[4:5], exec
	s_and_b64 s[8:9], vcc, exec
	v_mov_b32_e32 v0, 0
	s_or_b64 s[4:5], s[4:5], s[8:9]
	s_or_b64 exec, exec, s[6:7]
	s_and_saveexec_b64 s[6:7], s[4:5]
	s_cbranch_execnz .LBB17_453
	s_branch .LBB17_454
.LBB17_471:
	s_mov_b64 s[4:5], -1
                                        ; implicit-def: $vgpr0
	s_branch .LBB17_476
.LBB17_472:
	s_mov_b64 s[4:5], -1
                                        ; implicit-def: $vgpr0
.LBB17_473:
	s_and_b64 vcc, exec, s[4:5]
	s_cbranch_vccz .LBB17_475
; %bb.474:
	global_load_ubyte v0, v[2:3], off
	s_mov_b32 s4, 0x7f800000
	s_waitcnt vmcnt(0)
	v_lshlrev_b32_e32 v0, 24, v0
	v_and_b32_e32 v1, 0x7f000000, v0
	v_ffbh_u32_e32 v4, v1
	v_min_u32_e32 v4, 32, v4
	v_sub_u32_e64 v4, v4, 4 clamp
	v_lshlrev_b32_e32 v6, v4, v1
	v_lshlrev_b32_e32 v4, 23, v4
	v_lshrrev_b32_e32 v6, 4, v6
	v_add_u32_e32 v5, 0x1000000, v1
	v_sub_u32_e32 v4, v6, v4
	v_ashrrev_i32_e32 v5, 8, v5
	v_add_u32_e32 v4, 0x3c000000, v4
	v_and_or_b32 v4, v5, s4, v4
	v_cmp_ne_u32_e32 vcc, 0, v1
	v_cndmask_b32_e32 v1, 0, v4, vcc
	s_brev_b32 s4, 1
	v_and_or_b32 v0, v0, s4, v1
.LBB17_475:
	s_mov_b64 s[4:5], 0
.LBB17_476:
	s_andn2_b64 vcc, exec, s[4:5]
	s_cbranch_vccnz .LBB17_478
; %bb.477:
	global_load_ubyte v0, v[2:3], off
	s_movk_i32 s4, 0x7f00
	s_brev_b32 s5, 16
	s_waitcnt vmcnt(0)
	v_lshlrev_b16_e32 v1, 8, v0
	v_lshlrev_b32_e32 v0, 25, v0
	v_lshrrev_b32_e32 v4, 4, v0
	v_and_or_b32 v5, v1, s4, 0.5
	v_or_b32_e32 v4, 0x70000000, v4
	v_add_f32_e32 v5, -0.5, v5
	v_mul_f32_e32 v4, 0x7800000, v4
	v_cmp_gt_u32_e32 vcc, s5, v0
	v_bfe_i32 v1, v1, 0, 16
	v_cndmask_b32_e32 v0, v4, v5, vcc
	s_brev_b32 s4, 1
	v_and_or_b32 v0, v1, s4, v0
.LBB17_478:
	s_mov_b64 s[6:7], 0
	s_mov_b64 s[4:5], -1
.LBB17_479:
	s_andn2_b64 vcc, exec, s[6:7]
	s_cbranch_vccnz .LBB17_492
; %bb.480:
	v_cmp_lt_i16_e32 vcc, 14, v44
	s_cbranch_vccz .LBB17_483
; %bb.481:
	v_cmp_eq_u16_e32 vcc, 15, v44
	s_cbranch_vccz .LBB17_486
; %bb.482:
	global_load_ushort v0, v[2:3], off
	s_mov_b64 s[4:5], -1
	s_mov_b64 s[72:73], 0
	s_waitcnt vmcnt(0)
	v_lshlrev_b32_e32 v0, 16, v0
	s_branch .LBB17_487
.LBB17_483:
	s_mov_b64 s[6:7], -1
                                        ; implicit-def: $vgpr0
	s_branch .LBB17_488
.LBB17_484:
	s_or_saveexec_b64 s[6:7], s[6:7]
	v_mov_b32_e32 v0, s10
	s_xor_b64 exec, exec, s[6:7]
	s_cbranch_execz .LBB17_465
.LBB17_485:
	v_cmp_ne_u16_e32 vcc, 0, v1
	s_andn2_b64 s[4:5], s[4:5], exec
	s_and_b64 s[8:9], vcc, exec
	v_mov_b32_e32 v0, 0
	s_or_b64 s[4:5], s[4:5], s[8:9]
	s_or_b64 exec, exec, s[6:7]
	s_and_saveexec_b64 s[6:7], s[4:5]
	s_cbranch_execnz .LBB17_466
	s_branch .LBB17_467
.LBB17_486:
	s_mov_b64 s[72:73], -1
                                        ; implicit-def: $vgpr0
.LBB17_487:
	s_mov_b64 s[6:7], 0
.LBB17_488:
	s_and_b64 vcc, exec, s[6:7]
	s_cbranch_vccz .LBB17_492
; %bb.489:
	v_cmp_eq_u16_e32 vcc, 11, v44
	s_cbranch_vccz .LBB17_491
; %bb.490:
	global_load_ubyte v0, v[2:3], off
	s_mov_b64 s[4:5], -1
	s_mov_b64 s[72:73], 0
	s_waitcnt vmcnt(0)
	v_cmp_ne_u16_e32 vcc, 0, v0
	v_cndmask_b32_e64 v0, 0, 1.0, vcc
	s_branch .LBB17_492
.LBB17_491:
	s_mov_b64 s[72:73], -1
                                        ; implicit-def: $vgpr0
.LBB17_492:
	s_branch .LBB17_295
.LBB17_493:
	v_cmp_gt_i16_e32 vcc, 5, v44
	s_cbranch_vccnz .LBB17_498
; %bb.494:
	v_cmp_gt_i16_e32 vcc, 8, v44
	s_cbranch_vccnz .LBB17_499
; %bb.495:
	;; [unrolled: 3-line block ×3, first 2 shown]
	v_cmp_lt_i16_e32 vcc, 9, v44
	s_cbranch_vccz .LBB17_501
; %bb.497:
	global_load_dwordx2 v[0:1], v[2:3], off
	s_mov_b64 s[4:5], 0
	s_waitcnt vmcnt(0)
	v_cvt_f32_f64_e32 v0, v[0:1]
	s_branch .LBB17_502
.LBB17_498:
	s_mov_b64 s[4:5], -1
                                        ; implicit-def: $vgpr0
	s_branch .LBB17_520
.LBB17_499:
	s_mov_b64 s[4:5], -1
                                        ; implicit-def: $vgpr0
	s_branch .LBB17_508
.LBB17_500:
	s_mov_b64 s[4:5], -1
                                        ; implicit-def: $vgpr0
	s_branch .LBB17_505
.LBB17_501:
	s_mov_b64 s[4:5], -1
                                        ; implicit-def: $vgpr0
.LBB17_502:
	s_andn2_b64 vcc, exec, s[4:5]
	s_cbranch_vccnz .LBB17_504
; %bb.503:
	global_load_dword v0, v[2:3], off
.LBB17_504:
	s_mov_b64 s[4:5], 0
.LBB17_505:
	s_andn2_b64 vcc, exec, s[4:5]
	s_cbranch_vccnz .LBB17_507
; %bb.506:
	global_load_dword v0, v[2:3], off
	s_waitcnt vmcnt(0)
	v_cvt_f32_f16_e32 v0, v0
.LBB17_507:
	s_mov_b64 s[4:5], 0
.LBB17_508:
	s_andn2_b64 vcc, exec, s[4:5]
	s_cbranch_vccnz .LBB17_519
; %bb.509:
	v_cmp_gt_i16_e32 vcc, 6, v44
	s_cbranch_vccnz .LBB17_512
; %bb.510:
	v_cmp_lt_i16_e32 vcc, 6, v44
	s_cbranch_vccz .LBB17_513
; %bb.511:
	global_load_dwordx2 v[0:1], v[2:3], off
	s_mov_b64 s[4:5], 0
	s_waitcnt vmcnt(0)
	v_cvt_f32_f64_e32 v0, v[0:1]
	s_branch .LBB17_514
.LBB17_512:
	s_mov_b64 s[4:5], -1
                                        ; implicit-def: $vgpr0
	s_branch .LBB17_517
.LBB17_513:
	s_mov_b64 s[4:5], -1
                                        ; implicit-def: $vgpr0
.LBB17_514:
	s_andn2_b64 vcc, exec, s[4:5]
	s_cbranch_vccnz .LBB17_516
; %bb.515:
	global_load_dword v0, v[2:3], off
.LBB17_516:
	s_mov_b64 s[4:5], 0
.LBB17_517:
	s_andn2_b64 vcc, exec, s[4:5]
	s_cbranch_vccnz .LBB17_519
; %bb.518:
	global_load_ushort v0, v[2:3], off
	s_waitcnt vmcnt(0)
	v_cvt_f32_f16_e32 v0, v0
.LBB17_519:
	s_mov_b64 s[4:5], 0
.LBB17_520:
	s_andn2_b64 vcc, exec, s[4:5]
	s_cbranch_vccnz .LBB17_540
; %bb.521:
	v_cmp_gt_i16_e32 vcc, 2, v44
	s_cbranch_vccnz .LBB17_525
; %bb.522:
	v_cmp_gt_i16_e32 vcc, 3, v44
	s_cbranch_vccnz .LBB17_526
; %bb.523:
	v_cmp_lt_i16_e32 vcc, 3, v44
	s_cbranch_vccz .LBB17_527
; %bb.524:
	global_load_dwordx2 v[0:1], v[2:3], off
	s_mov_b64 s[4:5], 0
	s_waitcnt vmcnt(0)
	v_xor_b32_e32 v5, v0, v1
	v_ffbh_i32_e32 v4, v1
	v_ashrrev_i32_e32 v5, 31, v5
	v_add_u32_e32 v4, -1, v4
	v_add_u32_e32 v5, 32, v5
	v_min_u32_e32 v4, v4, v5
	v_lshlrev_b64 v[0:1], v4, v[0:1]
	v_min_u32_e32 v0, 1, v0
	v_or_b32_e32 v0, v1, v0
	v_cvt_f32_i32_e32 v0, v0
	v_sub_u32_e32 v1, 32, v4
	v_ldexp_f32 v0, v0, v1
	s_branch .LBB17_528
.LBB17_525:
	s_mov_b64 s[4:5], -1
                                        ; implicit-def: $vgpr0
	s_branch .LBB17_534
.LBB17_526:
	s_mov_b64 s[4:5], -1
                                        ; implicit-def: $vgpr0
	s_branch .LBB17_531
.LBB17_527:
	s_mov_b64 s[4:5], -1
                                        ; implicit-def: $vgpr0
.LBB17_528:
	s_andn2_b64 vcc, exec, s[4:5]
	s_cbranch_vccnz .LBB17_530
; %bb.529:
	global_load_dword v0, v[2:3], off
	s_waitcnt vmcnt(0)
	v_cvt_f32_i32_e32 v0, v0
.LBB17_530:
	s_mov_b64 s[4:5], 0
.LBB17_531:
	s_andn2_b64 vcc, exec, s[4:5]
	s_cbranch_vccnz .LBB17_533
; %bb.532:
	global_load_sshort v0, v[2:3], off
	s_waitcnt vmcnt(0)
	v_cvt_f32_i32_e32 v0, v0
.LBB17_533:
	s_mov_b64 s[4:5], 0
.LBB17_534:
	s_andn2_b64 vcc, exec, s[4:5]
	s_cbranch_vccnz .LBB17_540
; %bb.535:
	v_cmp_lt_i16_e32 vcc, 0, v44
	s_cbranch_vccz .LBB17_537
; %bb.536:
	global_load_sbyte v0, v[2:3], off
	s_mov_b64 s[4:5], 0
	s_waitcnt vmcnt(0)
	v_cvt_f32_i32_e32 v0, v0
	s_branch .LBB17_538
.LBB17_537:
	s_mov_b64 s[4:5], -1
                                        ; implicit-def: $vgpr0
.LBB17_538:
	s_andn2_b64 vcc, exec, s[4:5]
	s_cbranch_vccnz .LBB17_540
; %bb.539:
	global_load_ubyte v0, v[2:3], off
	s_waitcnt vmcnt(0)
	v_cvt_f32_ubyte0_e32 v0, v0
.LBB17_540:
	s_branch .LBB17_296
.LBB17_541:
	s_mov_b64 s[6:7], 0
	s_mov_b64 s[4:5], s[66:67]
.LBB17_542:
                                        ; implicit-def: $vgpr45
.LBB17_543:
	s_andn2_b64 s[8:9], s[66:67], exec
	s_and_b64 s[4:5], s[4:5], exec
	s_or_b64 s[74:75], s[8:9], s[4:5]
	s_andn2_b64 s[4:5], s[68:69], exec
	s_and_b64 s[8:9], s[72:73], exec
	s_or_b64 s[72:73], s[4:5], s[8:9]
	s_orn2_b64 s[4:5], s[6:7], exec
.LBB17_544:
	s_or_b64 exec, exec, s[76:77]
	s_mov_b64 s[6:7], 0
	s_mov_b64 s[8:9], 0
	s_mov_b64 s[10:11], 0
                                        ; implicit-def: $vgpr2_vgpr3
                                        ; implicit-def: $vgpr42
                                        ; implicit-def: $vgpr1
	s_and_saveexec_b64 s[76:77], s[4:5]
	s_cbranch_execz .LBB17_921
; %bb.545:
	v_cmp_gt_i32_e32 vcc, s84, v45
	s_mov_b64 s[6:7], -1
	s_mov_b64 s[24:25], s[72:73]
	s_mov_b64 s[26:27], s[74:75]
	s_and_saveexec_b64 s[78:79], vcc
	s_cbranch_execz .LBB17_820
; %bb.546:
	s_andn2_b64 vcc, exec, s[54:55]
	s_cbranch_vccnz .LBB17_552
; %bb.547:
	s_mov_b32 s24, 0
	s_andn2_b64 vcc, exec, s[64:65]
	s_waitcnt vmcnt(0)
	v_mov_b32_e32 v0, 0
	v_mov_b32_e32 v42, 0
	s_cbranch_vccnz .LBB17_558
; %bb.548:
	s_add_i32 s30, s85, 1
	s_cmp_eq_u32 s83, 2
	s_cbranch_scc1 .LBB17_553
; %bb.549:
	s_and_b32 s24, s30, 28
	s_mov_b32 s25, 0
	v_mov_b32_e32 v42, 0
	s_mov_b64 s[26:27], s[38:39]
	s_mov_b64 s[28:29], s[62:63]
	v_mov_b32_e32 v1, v45
	v_mov_b32_e32 v0, 0
.LBB17_550:                             ; =>This Inner Loop Header: Depth=1
	s_load_dwordx8 s[12:19], s[26:27], 0x4
	s_load_dwordx4 s[20:23], s[26:27], 0x24
	s_load_dwordx8 s[4:11], s[28:29], 0x0
	s_add_u32 s26, s26, 48
	s_addc_u32 s27, s27, 0
	s_waitcnt lgkmcnt(0)
	v_mul_hi_u32 v2, s13, v1
	v_add_u32_e32 v2, v1, v2
	v_lshrrev_b32_e32 v2, s14, v2
	v_mul_lo_u32 v3, v2, s12
	v_mul_hi_u32 v4, s16, v2
	v_sub_u32_e32 v1, v1, v3
	v_add_u32_e32 v3, v2, v4
	v_lshrrev_b32_e32 v3, s17, v3
	v_mul_lo_u32 v5, v3, s15
	v_mul_hi_u32 v6, s19, v3
	v_sub_u32_e32 v2, v2, v5
	v_add_u32_e32 v5, v3, v6
	v_mul_lo_u32 v4, v1, s5
	v_mul_lo_u32 v1, v1, s4
	;; [unrolled: 1-line block ×4, first 2 shown]
	v_lshrrev_b32_e32 v5, s20, v5
	v_add3_u32 v2, v1, v42, v2
	v_add3_u32 v0, v4, v0, v6
	v_mul_lo_u32 v1, v5, s18
	v_mul_hi_u32 v4, s22, v5
	v_sub_u32_e32 v1, v3, v1
	v_add_u32_e32 v3, v5, v4
	v_mul_lo_u32 v4, v1, s8
	v_mul_lo_u32 v6, v1, s9
	v_lshrrev_b32_e32 v1, s23, v3
	s_add_i32 s25, s25, 4
	v_mul_lo_u32 v3, v1, s21
	s_add_u32 s28, s28, 32
	v_sub_u32_e32 v3, v5, v3
	s_addc_u32 s29, s29, 0
	v_mul_lo_u32 v5, v3, s10
	v_mul_lo_u32 v3, v3, s11
	s_cmp_eq_u32 s24, s25
	v_add3_u32 v0, v6, v0, v3
	v_add3_u32 v42, v4, v2, v5
	s_cbranch_scc0 .LBB17_550
; %bb.551:
	v_mov_b32_e32 v43, v0
	s_branch .LBB17_554
.LBB17_552:
	s_mov_b64 s[4:5], -1
                                        ; implicit-def: $vgpr0
                                        ; implicit-def: $vgpr42
	s_branch .LBB17_559
.LBB17_553:
	s_mov_b32 s25, s24
	v_pk_mov_b32 v[42:43], s[24:25], s[24:25] op_sel:[0,1]
                                        ; implicit-def: $vgpr0
	v_mov_b32_e32 v1, v45
.LBB17_554:
	s_and_b32 s8, s30, 3
	s_cmp_eq_u32 s8, 0
	s_cbranch_scc1 .LBB17_558
; %bb.555:
	s_lshl_b32 s4, s24, 3
	s_add_u32 s4, s4, s38
	s_addc_u32 s5, s39, 0
	s_add_u32 s4, s4, 0xc4
	s_addc_u32 s5, s5, 0
	s_mul_i32 s6, s24, 12
	s_add_u32 s6, s38, s6
	s_addc_u32 s7, s39, 0
.LBB17_556:                             ; =>This Inner Loop Header: Depth=1
	s_load_dwordx2 s[10:11], s[6:7], 0x4
	s_load_dword s9, s[6:7], 0xc
	s_load_dwordx2 s[12:13], s[4:5], 0x0
	s_add_u32 s6, s6, 12
	s_addc_u32 s7, s7, 0
	s_waitcnt lgkmcnt(0)
	v_mul_hi_u32 v2, s11, v1
	v_add_u32_e32 v2, v1, v2
	v_lshrrev_b32_e32 v2, s9, v2
	v_mul_lo_u32 v3, v2, s10
	v_mov_b32_e32 v0, v43
	s_add_u32 s4, s4, 8
	v_sub_u32_e32 v4, v1, v3
	v_mov_b32_e32 v1, v2
	s_addc_u32 s5, s5, 0
	s_add_i32 s8, s8, -1
	v_mad_u64_u32 v[2:3], s[10:11], v4, s13, v[0:1]
	v_mad_u64_u32 v[42:43], s[10:11], v4, s12, v[42:43]
	s_cmp_lg_u32 s8, 0
	v_mov_b32_e32 v43, v2
	s_cbranch_scc1 .LBB17_556
; %bb.557:
	v_mov_b32_e32 v0, v43
.LBB17_558:
	s_mov_b64 s[4:5], 0
.LBB17_559:
	s_andn2_b64 vcc, exec, s[4:5]
	s_cbranch_vccnz .LBB17_562
; %bb.560:
	s_waitcnt vmcnt(0) lgkmcnt(0)
	v_mul_hi_u32 v0, s49, v45
	v_add_u32_e32 v0, v45, v0
	v_lshrrev_b32_e32 v1, s50, v0
	v_mul_lo_u32 v0, v1, s48
	v_sub_u32_e32 v2, v45, v0
	v_mul_lo_u32 v0, v2, s45
	s_andn2_b64 vcc, exec, s[60:61]
	v_mul_lo_u32 v42, v2, s44
	s_cbranch_vccnz .LBB17_562
; %bb.561:
	v_mul_hi_u32 v2, s58, v1
	v_add_u32_e32 v2, v1, v2
	v_lshrrev_b32_e32 v2, s59, v2
	v_mul_lo_u32 v2, v2, s51
	v_sub_u32_e32 v1, v1, v2
	v_mad_u64_u32 v[42:43], s[4:5], v1, s46, v[42:43]
	v_mad_u64_u32 v[0:1], s[4:5], v1, s47, v[0:1]
.LBB17_562:
	s_waitcnt lgkmcnt(0)
	v_mov_b32_e32 v1, s43
	s_waitcnt vmcnt(0)
	v_add_co_u32_e32 v2, vcc, s42, v0
	v_addc_co_u32_e32 v3, vcc, 0, v1, vcc
	v_cmp_gt_i16_e32 vcc, 11, v44
	s_cbranch_vccnz .LBB17_569
; %bb.563:
	v_cmp_lt_i16_e32 vcc, 25, v44
	s_cbranch_vccz .LBB17_570
; %bb.564:
	v_cmp_lt_i16_e32 vcc, 28, v44
	s_cbranch_vccz .LBB17_571
	;; [unrolled: 3-line block ×4, first 2 shown]
; %bb.567:
	v_cmp_eq_u16_e32 vcc, 46, v44
	s_mov_b64 s[6:7], 0
	s_cbranch_vccz .LBB17_578
; %bb.568:
	global_load_dword v0, v[2:3], off
	s_mov_b64 s[4:5], -1
	s_mov_b64 s[80:81], 0
	s_waitcnt vmcnt(0)
	v_lshlrev_b32_e32 v0, 16, v0
	s_branch .LBB17_579
.LBB17_569:
	s_mov_b64 s[6:7], -1
	s_mov_b64 s[4:5], 0
                                        ; implicit-def: $vgpr0
	s_mov_b64 s[80:81], s[72:73]
	s_branch .LBB17_644
.LBB17_570:
	s_mov_b64 s[6:7], -1
	s_mov_b64 s[4:5], 0
	s_mov_b64 s[80:81], s[72:73]
                                        ; implicit-def: $vgpr0
	s_branch .LBB17_608
.LBB17_571:
	s_mov_b64 s[6:7], -1
	s_mov_b64 s[4:5], 0
	s_mov_b64 s[80:81], s[72:73]
                                        ; implicit-def: $vgpr0
	s_branch .LBB17_589
.LBB17_572:
	s_mov_b64 s[6:7], -1
	s_mov_b64 s[4:5], 0
	s_mov_b64 s[80:81], s[72:73]
                                        ; implicit-def: $vgpr0
	s_branch .LBB17_584
.LBB17_573:
	s_or_saveexec_b64 s[10:11], s[10:11]
                                        ; implicit-def: $sgpr12
	s_xor_b64 exec, exec, s[10:11]
	s_cbranch_execz .LBB17_341
.LBB17_574:
	s_mov_b32 s12, 0x46000000
	v_add_f32_e64 v1, |v0|, s12
	v_and_b32_e32 v1, 0xff, v1
	v_cmp_ne_u32_e32 vcc, 0, v1
	s_andn2_b64 s[8:9], s[8:9], exec
	s_and_b64 s[14:15], vcc, exec
	s_mov_b32 s12, 0
	s_or_b64 s[8:9], s[8:9], s[14:15]
	s_or_b64 exec, exec, s[10:11]
	v_mov_b32_e32 v4, s12
	s_and_saveexec_b64 s[10:11], s[8:9]
	s_cbranch_execnz .LBB17_342
	s_branch .LBB17_343
.LBB17_575:
	s_mov_b64 s[6:7], -1
	s_mov_b64 s[4:5], 0
	s_mov_b64 s[80:81], s[72:73]
                                        ; implicit-def: $vgpr0
	s_branch .LBB17_579
.LBB17_576:
	s_or_saveexec_b64 s[10:11], s[10:11]
                                        ; implicit-def: $sgpr12
	s_xor_b64 exec, exec, s[10:11]
	s_cbranch_execz .LBB17_354
.LBB17_577:
	s_mov_b32 s12, 0x42800000
	v_add_f32_e64 v1, |v0|, s12
	v_and_b32_e32 v1, 0xff, v1
	v_cmp_ne_u32_e32 vcc, 0, v1
	s_andn2_b64 s[8:9], s[8:9], exec
	s_and_b64 s[14:15], vcc, exec
	s_mov_b32 s12, 0
	s_or_b64 s[8:9], s[8:9], s[14:15]
	s_or_b64 exec, exec, s[10:11]
	v_mov_b32_e32 v4, s12
	s_and_saveexec_b64 s[10:11], s[8:9]
	s_cbranch_execnz .LBB17_355
	s_branch .LBB17_356
.LBB17_578:
	s_mov_b64 s[80:81], -1
                                        ; implicit-def: $vgpr0
	s_mov_b64 s[4:5], 0
.LBB17_579:
	s_and_b64 vcc, exec, s[6:7]
	s_cbranch_vccz .LBB17_583
; %bb.580:
	v_cmp_eq_u16_e32 vcc, 44, v44
	s_cbranch_vccz .LBB17_582
; %bb.581:
	global_load_ubyte v0, v[2:3], off
	s_movk_i32 s6, 0xff
	v_mov_b32_e32 v1, 0x7f800001
	v_mov_b32_e32 v4, 0x400000
	s_mov_b64 s[4:5], -1
	s_mov_b64 s[80:81], 0
	s_waitcnt vmcnt(0)
	v_lshlrev_b32_e32 v5, 23, v0
	v_cmp_ne_u32_e32 vcc, s6, v0
	v_cndmask_b32_e32 v1, v1, v5, vcc
	v_cmp_ne_u32_e32 vcc, 0, v0
	v_cndmask_b32_e32 v0, v4, v1, vcc
	s_branch .LBB17_583
.LBB17_582:
	s_mov_b64 s[80:81], -1
                                        ; implicit-def: $vgpr0
.LBB17_583:
	s_mov_b64 s[6:7], 0
.LBB17_584:
	s_and_b64 vcc, exec, s[6:7]
	s_cbranch_vccz .LBB17_588
; %bb.585:
	v_cmp_eq_u16_e32 vcc, 29, v44
	s_cbranch_vccz .LBB17_587
; %bb.586:
	global_load_dwordx2 v[0:1], v[2:3], off
	s_mov_b64 s[4:5], -1
	s_mov_b64 s[80:81], 0
	s_mov_b64 s[6:7], 0
	s_waitcnt vmcnt(0)
	v_ffbh_u32_e32 v4, v1
	v_min_u32_e32 v4, 32, v4
	v_lshlrev_b64 v[0:1], v4, v[0:1]
	v_min_u32_e32 v0, 1, v0
	v_or_b32_e32 v0, v1, v0
	v_cvt_f32_u32_e32 v0, v0
	v_sub_u32_e32 v1, 32, v4
	v_ldexp_f32 v0, v0, v1
	s_branch .LBB17_589
.LBB17_587:
	s_mov_b64 s[80:81], -1
                                        ; implicit-def: $vgpr0
.LBB17_588:
	s_mov_b64 s[6:7], 0
.LBB17_589:
	s_and_b64 vcc, exec, s[6:7]
	s_cbranch_vccz .LBB17_607
; %bb.590:
	v_cmp_gt_i16_e32 vcc, 27, v44
	s_cbranch_vccnz .LBB17_593
; %bb.591:
	v_cmp_lt_i16_e32 vcc, 27, v44
	s_cbranch_vccz .LBB17_594
; %bb.592:
	global_load_dword v0, v[2:3], off
	s_mov_b64 s[4:5], 0
	s_waitcnt vmcnt(0)
	v_cvt_f32_u32_e32 v0, v0
	s_branch .LBB17_595
.LBB17_593:
	s_mov_b64 s[4:5], -1
                                        ; implicit-def: $vgpr0
	s_branch .LBB17_598
.LBB17_594:
	s_mov_b64 s[4:5], -1
                                        ; implicit-def: $vgpr0
.LBB17_595:
	s_andn2_b64 vcc, exec, s[4:5]
	s_cbranch_vccnz .LBB17_597
; %bb.596:
	global_load_ushort v0, v[2:3], off
	s_waitcnt vmcnt(0)
	v_cvt_f32_u32_e32 v0, v0
.LBB17_597:
	s_mov_b64 s[4:5], 0
.LBB17_598:
	s_andn2_b64 vcc, exec, s[4:5]
	s_cbranch_vccnz .LBB17_606
; %bb.599:
	global_load_ubyte v1, v[2:3], off
	s_movk_i32 s4, 0x7f
                                        ; implicit-def: $sgpr10
	s_waitcnt vmcnt(0)
	v_cmp_lt_i16_e32 vcc, s4, v1
	s_mov_b64 s[4:5], 0
	s_and_saveexec_b64 s[6:7], vcc
	s_xor_b64 s[6:7], exec, s[6:7]
	s_cbranch_execz .LBB17_620
; %bb.600:
	s_movk_i32 s4, 0x80
	v_cmp_eq_u16_e32 vcc, s4, v1
	s_mov_b64 s[4:5], -1
                                        ; implicit-def: $sgpr10
	s_and_saveexec_b64 s[8:9], vcc
; %bb.601:
	s_mov_b32 s10, 0x7f800001
	s_xor_b64 s[4:5], exec, -1
; %bb.602:
	s_or_b64 exec, exec, s[8:9]
	s_and_b64 s[4:5], s[4:5], exec
	s_or_saveexec_b64 s[6:7], s[6:7]
	v_mov_b32_e32 v0, s10
	s_xor_b64 exec, exec, s[6:7]
	s_cbranch_execnz .LBB17_621
.LBB17_603:
	s_or_b64 exec, exec, s[6:7]
	s_and_saveexec_b64 s[6:7], s[4:5]
	s_cbranch_execz .LBB17_605
.LBB17_604:
	v_lshlrev_b32_e32 v0, 24, v1
	v_and_b32_e32 v1, 0xffff, v1
	v_and_b32_e32 v4, 7, v1
	v_ffbh_u32_e32 v6, v4
	v_min_u32_e32 v6, 32, v6
	v_subrev_u32_e32 v7, 28, v6
	v_bfe_u32 v5, v1, 3, 4
	v_lshlrev_b32_e32 v1, v7, v1
	v_sub_u32_e32 v6, 29, v6
	v_and_b32_e32 v1, 7, v1
	v_cmp_eq_u32_e32 vcc, 0, v5
	v_cndmask_b32_e32 v5, v5, v6, vcc
	v_cndmask_b32_e32 v1, v4, v1, vcc
	v_mov_b32_e32 v4, 0x3b800000
	v_lshlrev_b32_e32 v1, 20, v1
	v_and_b32_e32 v0, 0x80000000, v0
	v_lshl_add_u32 v4, v5, 23, v4
	v_or3_b32 v0, v0, v4, v1
.LBB17_605:
	s_or_b64 exec, exec, s[6:7]
.LBB17_606:
	s_mov_b64 s[4:5], -1
.LBB17_607:
	s_mov_b64 s[6:7], 0
.LBB17_608:
	s_and_b64 vcc, exec, s[6:7]
	s_cbranch_vccz .LBB17_643
; %bb.609:
	v_cmp_lt_i16_e32 vcc, 22, v44
	s_cbranch_vccz .LBB17_619
; %bb.610:
	v_cmp_gt_i16_e32 vcc, 24, v44
	s_cbranch_vccnz .LBB17_622
; %bb.611:
	v_cmp_lt_i16_e32 vcc, 24, v44
	s_cbranch_vccz .LBB17_623
; %bb.612:
	global_load_ubyte v1, v[2:3], off
	s_movk_i32 s4, 0x7f
                                        ; implicit-def: $sgpr10
	s_waitcnt vmcnt(0)
	v_cmp_lt_i16_e32 vcc, s4, v1
	s_mov_b64 s[4:5], 0
	s_and_saveexec_b64 s[6:7], vcc
	s_xor_b64 s[6:7], exec, s[6:7]
	s_cbranch_execz .LBB17_635
; %bb.613:
	s_movk_i32 s4, 0x80
	v_cmp_eq_u16_e32 vcc, s4, v1
	s_mov_b64 s[4:5], -1
                                        ; implicit-def: $sgpr10
	s_and_saveexec_b64 s[8:9], vcc
; %bb.614:
	s_mov_b32 s10, 0x7f800001
	s_xor_b64 s[4:5], exec, -1
; %bb.615:
	s_or_b64 exec, exec, s[8:9]
	s_and_b64 s[4:5], s[4:5], exec
	s_or_saveexec_b64 s[6:7], s[6:7]
	v_mov_b32_e32 v0, s10
	s_xor_b64 exec, exec, s[6:7]
	s_cbranch_execnz .LBB17_636
.LBB17_616:
	s_or_b64 exec, exec, s[6:7]
	s_and_saveexec_b64 s[6:7], s[4:5]
	s_cbranch_execz .LBB17_618
.LBB17_617:
	v_lshlrev_b32_e32 v0, 24, v1
	v_and_b32_e32 v1, 0xffff, v1
	v_and_b32_e32 v4, 3, v1
	v_ffbh_u32_e32 v6, v4
	v_min_u32_e32 v6, 32, v6
	v_subrev_u32_e32 v7, 29, v6
	v_bfe_u32 v5, v1, 2, 5
	v_lshlrev_b32_e32 v1, v7, v1
	v_sub_u32_e32 v6, 30, v6
	v_and_b32_e32 v1, 3, v1
	v_cmp_eq_u32_e32 vcc, 0, v5
	v_cndmask_b32_e32 v5, v5, v6, vcc
	v_cndmask_b32_e32 v1, v4, v1, vcc
	v_mov_b32_e32 v4, 0x37800000
	v_lshlrev_b32_e32 v1, 21, v1
	v_and_b32_e32 v0, 0x80000000, v0
	v_lshl_add_u32 v4, v5, 23, v4
	v_or3_b32 v0, v0, v4, v1
.LBB17_618:
	s_or_b64 exec, exec, s[6:7]
	s_mov_b64 s[4:5], 0
	s_branch .LBB17_624
.LBB17_619:
	s_mov_b64 s[6:7], -1
                                        ; implicit-def: $vgpr0
	s_branch .LBB17_630
.LBB17_620:
	s_or_saveexec_b64 s[6:7], s[6:7]
	v_mov_b32_e32 v0, s10
	s_xor_b64 exec, exec, s[6:7]
	s_cbranch_execz .LBB17_603
.LBB17_621:
	v_cmp_ne_u16_e32 vcc, 0, v1
	s_andn2_b64 s[4:5], s[4:5], exec
	s_and_b64 s[8:9], vcc, exec
	v_mov_b32_e32 v0, 0
	s_or_b64 s[4:5], s[4:5], s[8:9]
	s_or_b64 exec, exec, s[6:7]
	s_and_saveexec_b64 s[6:7], s[4:5]
	s_cbranch_execnz .LBB17_604
	s_branch .LBB17_605
.LBB17_622:
	s_mov_b64 s[4:5], -1
                                        ; implicit-def: $vgpr0
	s_branch .LBB17_627
.LBB17_623:
	s_mov_b64 s[4:5], -1
                                        ; implicit-def: $vgpr0
.LBB17_624:
	s_and_b64 vcc, exec, s[4:5]
	s_cbranch_vccz .LBB17_626
; %bb.625:
	global_load_ubyte v0, v[2:3], off
	s_mov_b32 s4, 0x7f800000
	s_waitcnt vmcnt(0)
	v_lshlrev_b32_e32 v0, 24, v0
	v_and_b32_e32 v1, 0x7f000000, v0
	v_ffbh_u32_e32 v4, v1
	v_min_u32_e32 v4, 32, v4
	v_sub_u32_e64 v4, v4, 4 clamp
	v_lshlrev_b32_e32 v6, v4, v1
	v_lshlrev_b32_e32 v4, 23, v4
	v_lshrrev_b32_e32 v6, 4, v6
	v_add_u32_e32 v5, 0x1000000, v1
	v_sub_u32_e32 v4, v6, v4
	v_ashrrev_i32_e32 v5, 8, v5
	v_add_u32_e32 v4, 0x3c000000, v4
	v_and_or_b32 v4, v5, s4, v4
	v_cmp_ne_u32_e32 vcc, 0, v1
	v_cndmask_b32_e32 v1, 0, v4, vcc
	s_brev_b32 s4, 1
	v_and_or_b32 v0, v0, s4, v1
.LBB17_626:
	s_mov_b64 s[4:5], 0
.LBB17_627:
	s_andn2_b64 vcc, exec, s[4:5]
	s_cbranch_vccnz .LBB17_629
; %bb.628:
	global_load_ubyte v0, v[2:3], off
	s_movk_i32 s4, 0x7f00
	s_brev_b32 s5, 16
	s_waitcnt vmcnt(0)
	v_lshlrev_b16_e32 v1, 8, v0
	v_lshlrev_b32_e32 v0, 25, v0
	v_lshrrev_b32_e32 v4, 4, v0
	v_and_or_b32 v5, v1, s4, 0.5
	v_or_b32_e32 v4, 0x70000000, v4
	v_add_f32_e32 v5, -0.5, v5
	v_mul_f32_e32 v4, 0x7800000, v4
	v_cmp_gt_u32_e32 vcc, s5, v0
	v_bfe_i32 v1, v1, 0, 16
	v_cndmask_b32_e32 v0, v4, v5, vcc
	s_brev_b32 s4, 1
	v_and_or_b32 v0, v1, s4, v0
.LBB17_629:
	s_mov_b64 s[6:7], 0
	s_mov_b64 s[4:5], -1
.LBB17_630:
	s_andn2_b64 vcc, exec, s[6:7]
	s_cbranch_vccnz .LBB17_643
; %bb.631:
	v_cmp_lt_i16_e32 vcc, 14, v44
	s_cbranch_vccz .LBB17_634
; %bb.632:
	v_cmp_eq_u16_e32 vcc, 15, v44
	s_cbranch_vccz .LBB17_637
; %bb.633:
	global_load_ushort v0, v[2:3], off
	s_mov_b64 s[4:5], -1
	s_mov_b64 s[80:81], 0
	s_waitcnt vmcnt(0)
	v_lshlrev_b32_e32 v0, 16, v0
	s_branch .LBB17_638
.LBB17_634:
	s_mov_b64 s[6:7], -1
                                        ; implicit-def: $vgpr0
	s_branch .LBB17_639
.LBB17_635:
	s_or_saveexec_b64 s[6:7], s[6:7]
	v_mov_b32_e32 v0, s10
	s_xor_b64 exec, exec, s[6:7]
	s_cbranch_execz .LBB17_616
.LBB17_636:
	v_cmp_ne_u16_e32 vcc, 0, v1
	s_andn2_b64 s[4:5], s[4:5], exec
	s_and_b64 s[8:9], vcc, exec
	v_mov_b32_e32 v0, 0
	s_or_b64 s[4:5], s[4:5], s[8:9]
	s_or_b64 exec, exec, s[6:7]
	s_and_saveexec_b64 s[6:7], s[4:5]
	s_cbranch_execnz .LBB17_617
	s_branch .LBB17_618
.LBB17_637:
	s_mov_b64 s[80:81], -1
                                        ; implicit-def: $vgpr0
.LBB17_638:
	s_mov_b64 s[6:7], 0
.LBB17_639:
	s_and_b64 vcc, exec, s[6:7]
	s_cbranch_vccz .LBB17_643
; %bb.640:
	v_cmp_eq_u16_e32 vcc, 11, v44
	s_cbranch_vccz .LBB17_642
; %bb.641:
	global_load_ubyte v0, v[2:3], off
	s_mov_b64 s[4:5], -1
	s_mov_b64 s[80:81], 0
	s_waitcnt vmcnt(0)
	v_cmp_ne_u16_e32 vcc, 0, v0
	v_cndmask_b32_e64 v0, 0, 1.0, vcc
	s_branch .LBB17_643
.LBB17_642:
	s_mov_b64 s[80:81], -1
                                        ; implicit-def: $vgpr0
.LBB17_643:
	s_mov_b64 s[6:7], 0
.LBB17_644:
	s_and_b64 vcc, exec, s[6:7]
	s_cbranch_vccz .LBB17_693
; %bb.645:
	v_cmp_gt_i16_e32 vcc, 5, v44
	s_cbranch_vccnz .LBB17_650
; %bb.646:
	v_cmp_gt_i16_e32 vcc, 8, v44
	s_cbranch_vccnz .LBB17_651
; %bb.647:
	v_cmp_gt_i16_e32 vcc, 9, v44
	s_cbranch_vccnz .LBB17_652
; %bb.648:
	v_cmp_lt_i16_e32 vcc, 9, v44
	s_cbranch_vccz .LBB17_653
; %bb.649:
	global_load_dwordx2 v[0:1], v[2:3], off
	s_mov_b64 s[4:5], 0
	s_waitcnt vmcnt(0)
	v_cvt_f32_f64_e32 v0, v[0:1]
	s_branch .LBB17_654
.LBB17_650:
	s_mov_b64 s[4:5], -1
                                        ; implicit-def: $vgpr0
	s_branch .LBB17_672
.LBB17_651:
	s_mov_b64 s[4:5], -1
                                        ; implicit-def: $vgpr0
	s_branch .LBB17_660
.LBB17_652:
	s_mov_b64 s[4:5], -1
                                        ; implicit-def: $vgpr0
	s_branch .LBB17_657
.LBB17_653:
	s_mov_b64 s[4:5], -1
                                        ; implicit-def: $vgpr0
.LBB17_654:
	s_andn2_b64 vcc, exec, s[4:5]
	s_cbranch_vccnz .LBB17_656
; %bb.655:
	global_load_dword v0, v[2:3], off
.LBB17_656:
	s_mov_b64 s[4:5], 0
.LBB17_657:
	s_andn2_b64 vcc, exec, s[4:5]
	s_cbranch_vccnz .LBB17_659
; %bb.658:
	global_load_dword v0, v[2:3], off
	s_waitcnt vmcnt(0)
	v_cvt_f32_f16_e32 v0, v0
.LBB17_659:
	s_mov_b64 s[4:5], 0
.LBB17_660:
	s_andn2_b64 vcc, exec, s[4:5]
	s_cbranch_vccnz .LBB17_671
; %bb.661:
	v_cmp_gt_i16_e32 vcc, 6, v44
	s_cbranch_vccnz .LBB17_664
; %bb.662:
	v_cmp_lt_i16_e32 vcc, 6, v44
	s_cbranch_vccz .LBB17_665
; %bb.663:
	global_load_dwordx2 v[0:1], v[2:3], off
	s_mov_b64 s[4:5], 0
	s_waitcnt vmcnt(0)
	v_cvt_f32_f64_e32 v0, v[0:1]
	s_branch .LBB17_666
.LBB17_664:
	s_mov_b64 s[4:5], -1
                                        ; implicit-def: $vgpr0
	s_branch .LBB17_669
.LBB17_665:
	s_mov_b64 s[4:5], -1
                                        ; implicit-def: $vgpr0
.LBB17_666:
	s_andn2_b64 vcc, exec, s[4:5]
	s_cbranch_vccnz .LBB17_668
; %bb.667:
	global_load_dword v0, v[2:3], off
.LBB17_668:
	s_mov_b64 s[4:5], 0
.LBB17_669:
	s_andn2_b64 vcc, exec, s[4:5]
	s_cbranch_vccnz .LBB17_671
; %bb.670:
	global_load_ushort v0, v[2:3], off
	s_waitcnt vmcnt(0)
	v_cvt_f32_f16_e32 v0, v0
.LBB17_671:
	s_mov_b64 s[4:5], 0
.LBB17_672:
	s_andn2_b64 vcc, exec, s[4:5]
	s_cbranch_vccnz .LBB17_692
; %bb.673:
	v_cmp_gt_i16_e32 vcc, 2, v44
	s_cbranch_vccnz .LBB17_677
; %bb.674:
	v_cmp_gt_i16_e32 vcc, 3, v44
	s_cbranch_vccnz .LBB17_678
; %bb.675:
	v_cmp_lt_i16_e32 vcc, 3, v44
	s_cbranch_vccz .LBB17_679
; %bb.676:
	global_load_dwordx2 v[0:1], v[2:3], off
	s_mov_b64 s[4:5], 0
	s_waitcnt vmcnt(0)
	v_xor_b32_e32 v5, v0, v1
	v_ffbh_i32_e32 v4, v1
	v_ashrrev_i32_e32 v5, 31, v5
	v_add_u32_e32 v4, -1, v4
	v_add_u32_e32 v5, 32, v5
	v_min_u32_e32 v4, v4, v5
	v_lshlrev_b64 v[0:1], v4, v[0:1]
	v_min_u32_e32 v0, 1, v0
	v_or_b32_e32 v0, v1, v0
	v_cvt_f32_i32_e32 v0, v0
	v_sub_u32_e32 v1, 32, v4
	v_ldexp_f32 v0, v0, v1
	s_branch .LBB17_680
.LBB17_677:
	s_mov_b64 s[4:5], -1
                                        ; implicit-def: $vgpr0
	s_branch .LBB17_686
.LBB17_678:
	s_mov_b64 s[4:5], -1
                                        ; implicit-def: $vgpr0
	s_branch .LBB17_683
.LBB17_679:
	s_mov_b64 s[4:5], -1
                                        ; implicit-def: $vgpr0
.LBB17_680:
	s_andn2_b64 vcc, exec, s[4:5]
	s_cbranch_vccnz .LBB17_682
; %bb.681:
	global_load_dword v0, v[2:3], off
	s_waitcnt vmcnt(0)
	v_cvt_f32_i32_e32 v0, v0
.LBB17_682:
	s_mov_b64 s[4:5], 0
.LBB17_683:
	s_andn2_b64 vcc, exec, s[4:5]
	s_cbranch_vccnz .LBB17_685
; %bb.684:
	global_load_sshort v0, v[2:3], off
	s_waitcnt vmcnt(0)
	v_cvt_f32_i32_e32 v0, v0
.LBB17_685:
	s_mov_b64 s[4:5], 0
.LBB17_686:
	s_andn2_b64 vcc, exec, s[4:5]
	s_cbranch_vccnz .LBB17_692
; %bb.687:
	v_cmp_lt_i16_e32 vcc, 0, v44
	s_cbranch_vccz .LBB17_689
; %bb.688:
	global_load_sbyte v0, v[2:3], off
	s_mov_b64 s[4:5], 0
	s_waitcnt vmcnt(0)
	v_cvt_f32_i32_e32 v0, v0
	s_branch .LBB17_690
.LBB17_689:
	s_mov_b64 s[4:5], -1
                                        ; implicit-def: $vgpr0
.LBB17_690:
	s_andn2_b64 vcc, exec, s[4:5]
	s_cbranch_vccnz .LBB17_692
; %bb.691:
	global_load_ubyte v0, v[2:3], off
	s_waitcnt vmcnt(0)
	v_cvt_f32_ubyte0_e32 v0, v0
.LBB17_692:
	s_mov_b64 s[4:5], -1
.LBB17_693:
	s_andn2_b64 vcc, exec, s[4:5]
	s_cbranch_vccnz .LBB17_701
; %bb.694:
	s_getpc_b64 s[4:5]
	s_add_u32 s4, s4, _Z17bessel_j1_forwardIfET_S0_@rel32@lo+4
	s_addc_u32 s5, s5, _Z17bessel_j1_forwardIfET_S0_@rel32@hi+12
	s_swappc_b64 s[30:31], s[4:5]
	v_mov_b32_e32 v1, s41
	v_add_co_u32_e32 v2, vcc, s40, v42
	v_addc_co_u32_e32 v3, vcc, 0, v1, vcc
	v_mov_b32_e32 v1, 11
	v_cmp_lt_i16_sdwa s[4:5], v41, v1 src0_sel:BYTE_0 src1_sel:DWORD
	s_and_b64 vcc, exec, s[4:5]
	s_cbranch_vccnz .LBB17_702
; %bb.695:
	v_mov_b32_e32 v1, 25
	v_cmp_gt_i16_sdwa s[4:5], v41, v1 src0_sel:BYTE_0 src1_sel:DWORD
	s_and_b64 vcc, exec, s[4:5]
	s_cbranch_vccz .LBB17_703
; %bb.696:
	v_mov_b32_e32 v1, 28
	v_cmp_gt_i16_sdwa s[4:5], v41, v1 src0_sel:BYTE_0 src1_sel:DWORD
	s_and_b64 vcc, exec, s[4:5]
	s_cbranch_vccz .LBB17_704
	;; [unrolled: 5-line block ×4, first 2 shown]
; %bb.699:
	v_mov_b32_e32 v1, 46
	v_cmp_eq_u16_sdwa s[6:7], v41, v1 src0_sel:BYTE_0 src1_sel:DWORD
	s_mov_b64 s[8:9], 0
	s_mov_b64 s[4:5], -1
	s_and_b64 vcc, exec, s[6:7]
	s_mov_b64 s[6:7], 0
	s_cbranch_vccz .LBB17_707
; %bb.700:
	v_bfe_u32 v1, v0, 16, 1
	s_movk_i32 s4, 0x7fff
	v_add3_u32 v1, v0, v1, s4
	v_lshrrev_b32_e32 v1, 16, v1
	v_mov_b32_e32 v4, 0x7fc0
	v_cmp_o_f32_e32 vcc, v0, v0
	v_cndmask_b32_e32 v1, v4, v1, vcc
	global_store_dword v[2:3], v1, off
	s_mov_b64 s[6:7], -1
	s_mov_b64 s[4:5], 0
	s_branch .LBB17_707
.LBB17_701:
	s_mov_b64 s[6:7], 0
	s_mov_b64 s[4:5], s[74:75]
	s_branch .LBB17_818
.LBB17_702:
	s_mov_b64 s[8:9], -1
	s_mov_b64 s[6:7], 0
	s_mov_b64 s[4:5], s[74:75]
	s_branch .LBB17_776
.LBB17_703:
	s_mov_b64 s[8:9], -1
	s_mov_b64 s[6:7], 0
	s_mov_b64 s[4:5], s[74:75]
	s_branch .LBB17_734
.LBB17_704:
	s_mov_b64 s[8:9], -1
	s_mov_b64 s[6:7], 0
	s_mov_b64 s[4:5], s[74:75]
	s_branch .LBB17_717
.LBB17_705:
	s_mov_b64 s[8:9], -1
	s_mov_b64 s[6:7], 0
	s_mov_b64 s[4:5], s[74:75]
	s_branch .LBB17_713
.LBB17_706:
	s_mov_b64 s[8:9], -1
	s_mov_b64 s[6:7], 0
	s_mov_b64 s[4:5], s[74:75]
.LBB17_707:
	s_and_b64 vcc, exec, s[8:9]
	s_cbranch_vccz .LBB17_712
; %bb.708:
	v_mov_b32_e32 v1, 44
	v_cmp_eq_u16_sdwa s[8:9], v41, v1 src0_sel:BYTE_0 src1_sel:DWORD
	s_mov_b64 s[4:5], -1
	s_and_b64 vcc, exec, s[8:9]
	s_cbranch_vccz .LBB17_712
; %bb.709:
	v_bfe_u32 v1, v0, 23, 8
	s_movk_i32 s4, 0xff
	v_cmp_ne_u32_e32 vcc, s4, v1
	v_mov_b32_e32 v4, 0xff
	s_and_saveexec_b64 s[6:7], vcc
; %bb.710:
	s_mov_b32 s4, 0x3fffff
	v_and_b32_e32 v5, 0x400000, v0
	v_and_or_b32 v1, v0, s4, v1
	v_cmp_ne_u32_e32 vcc, 0, v5
	v_cmp_ne_u32_e64 s[4:5], 0, v1
	s_and_b64 s[4:5], vcc, s[4:5]
	v_lshrrev_b32_e32 v4, 23, v0
	v_cndmask_b32_e64 v1, 0, 1, s[4:5]
	v_add_u32_e32 v4, v4, v1
; %bb.711:
	s_or_b64 exec, exec, s[6:7]
	s_mov_b64 s[6:7], -1
	s_mov_b64 s[4:5], 0
	global_store_byte v[2:3], v4, off
.LBB17_712:
	s_mov_b64 s[8:9], 0
.LBB17_713:
	s_and_b64 vcc, exec, s[8:9]
	s_cbranch_vccz .LBB17_716
; %bb.714:
	v_mov_b32_e32 v1, 29
	v_cmp_eq_u16_sdwa s[8:9], v41, v1 src0_sel:BYTE_0 src1_sel:DWORD
	s_mov_b64 s[4:5], -1
	s_and_b64 vcc, exec, s[8:9]
	s_cbranch_vccz .LBB17_716
; %bb.715:
	v_trunc_f32_e32 v1, v0
	v_mul_f32_e32 v4, 0x2f800000, v1
	v_floor_f32_e32 v4, v4
	v_fmac_f32_e32 v1, 0xcf800000, v4
	v_cvt_u32_f32_e32 v5, v4
	v_cvt_u32_f32_e32 v4, v1
	s_mov_b64 s[6:7], -1
	s_mov_b64 s[4:5], 0
	s_mov_b64 s[8:9], 0
	global_store_dwordx2 v[2:3], v[4:5], off
	s_branch .LBB17_717
.LBB17_716:
	s_mov_b64 s[8:9], 0
.LBB17_717:
	s_and_b64 vcc, exec, s[8:9]
	s_cbranch_vccz .LBB17_733
; %bb.718:
	v_mov_b32_e32 v1, 27
	v_cmp_lt_i16_sdwa s[8:9], v41, v1 src0_sel:BYTE_0 src1_sel:DWORD
	s_mov_b64 s[6:7], -1
	s_and_b64 vcc, exec, s[8:9]
	s_cbranch_vccnz .LBB17_724
; %bb.719:
	v_cmp_gt_i16_sdwa s[8:9], v41, v1 src0_sel:BYTE_0 src1_sel:DWORD
	v_cvt_u32_f32_e32 v1, v0
	s_and_b64 vcc, exec, s[8:9]
	s_cbranch_vccz .LBB17_721
; %bb.720:
	s_mov_b64 s[6:7], 0
	global_store_dword v[2:3], v1, off
.LBB17_721:
	s_andn2_b64 vcc, exec, s[6:7]
	s_cbranch_vccnz .LBB17_723
; %bb.722:
	global_store_short v[2:3], v1, off
.LBB17_723:
	s_mov_b64 s[6:7], 0
.LBB17_724:
	s_andn2_b64 vcc, exec, s[6:7]
	s_cbranch_vccnz .LBB17_732
; %bb.725:
	v_and_b32_e32 v1, 0x7fffffff, v0
	s_mov_b32 s6, 0x43800000
	v_cmp_gt_u32_e32 vcc, s6, v1
	v_mov_b32_e32 v4, 0x80
	s_and_saveexec_b64 s[6:7], vcc
	s_cbranch_execz .LBB17_731
; %bb.726:
	s_mov_b32 s8, 0x3bffffff
	v_cmp_lt_u32_e32 vcc, s8, v1
	s_mov_b64 s[8:9], 0
                                        ; implicit-def: $vgpr1
	s_and_saveexec_b64 s[10:11], vcc
	s_xor_b64 s[10:11], exec, s[10:11]
	s_cbranch_execz .LBB17_849
; %bb.727:
	v_bfe_u32 v1, v0, 20, 1
	s_mov_b32 s12, 0x487ffff
	v_add3_u32 v1, v0, v1, s12
	s_mov_b64 s[8:9], exec
	v_lshrrev_b32_e32 v1, 20, v1
	s_or_saveexec_b64 s[10:11], s[10:11]
                                        ; implicit-def: $sgpr12
	s_xor_b64 exec, exec, s[10:11]
	s_cbranch_execnz .LBB17_850
.LBB17_728:
	s_or_b64 exec, exec, s[10:11]
	v_mov_b32_e32 v4, s12
	s_and_saveexec_b64 s[10:11], s[8:9]
.LBB17_729:
	v_lshrrev_b32_e32 v4, 24, v0
	s_movk_i32 s8, 0x80
	v_and_or_b32 v4, v4, s8, v1
.LBB17_730:
	s_or_b64 exec, exec, s[10:11]
.LBB17_731:
	s_or_b64 exec, exec, s[6:7]
	global_store_byte v[2:3], v4, off
.LBB17_732:
	s_mov_b64 s[6:7], -1
.LBB17_733:
	s_mov_b64 s[8:9], 0
.LBB17_734:
	s_and_b64 vcc, exec, s[8:9]
	s_cbranch_vccz .LBB17_775
; %bb.735:
	v_mov_b32_e32 v1, 22
	v_cmp_gt_i16_sdwa s[10:11], v41, v1 src0_sel:BYTE_0 src1_sel:DWORD
	s_mov_b64 s[8:9], -1
	s_and_b64 vcc, exec, s[10:11]
	s_cbranch_vccz .LBB17_767
; %bb.736:
	v_mov_b32_e32 v1, 24
	v_cmp_lt_i16_sdwa s[8:9], v41, v1 src0_sel:BYTE_0 src1_sel:DWORD
	s_mov_b64 s[6:7], -1
	s_and_b64 vcc, exec, s[8:9]
	s_cbranch_vccnz .LBB17_756
; %bb.737:
	v_cmp_gt_i16_sdwa s[8:9], v41, v1 src0_sel:BYTE_0 src1_sel:DWORD
	s_and_b64 vcc, exec, s[8:9]
	s_cbranch_vccz .LBB17_745
; %bb.738:
	v_and_b32_e32 v1, 0x7fffffff, v0
	s_mov_b32 s6, 0x47800000
	v_cmp_gt_u32_e32 vcc, s6, v1
	v_mov_b32_e32 v4, 0x80
	s_and_saveexec_b64 s[6:7], vcc
	s_cbranch_execz .LBB17_744
; %bb.739:
	s_mov_b32 s8, 0x37ffffff
	v_cmp_lt_u32_e32 vcc, s8, v1
	s_mov_b64 s[8:9], 0
                                        ; implicit-def: $vgpr1
	s_and_saveexec_b64 s[10:11], vcc
	s_xor_b64 s[10:11], exec, s[10:11]
	s_cbranch_execz .LBB17_852
; %bb.740:
	v_bfe_u32 v1, v0, 21, 1
	s_mov_b32 s12, 0x88fffff
	v_add3_u32 v1, v0, v1, s12
	s_mov_b64 s[8:9], exec
	v_lshrrev_b32_e32 v1, 21, v1
	s_or_saveexec_b64 s[10:11], s[10:11]
                                        ; implicit-def: $sgpr12
	s_xor_b64 exec, exec, s[10:11]
	s_cbranch_execnz .LBB17_853
.LBB17_741:
	s_or_b64 exec, exec, s[10:11]
	v_mov_b32_e32 v4, s12
	s_and_saveexec_b64 s[10:11], s[8:9]
.LBB17_742:
	v_lshrrev_b32_e32 v4, 24, v0
	s_movk_i32 s8, 0x80
	v_and_or_b32 v4, v4, s8, v1
.LBB17_743:
	s_or_b64 exec, exec, s[10:11]
.LBB17_744:
	s_or_b64 exec, exec, s[6:7]
	s_mov_b64 s[6:7], 0
	global_store_byte v[2:3], v4, off
.LBB17_745:
	s_and_b64 vcc, exec, s[6:7]
	s_cbranch_vccz .LBB17_755
; %bb.746:
	v_and_b32_e32 v4, 0x7fffffff, v0
	s_mov_b32 s6, 0x43f00000
	v_cmp_gt_u32_e32 vcc, s6, v4
                                        ; implicit-def: $vgpr1
	s_and_saveexec_b64 s[6:7], vcc
	s_xor_b64 s[6:7], exec, s[6:7]
	s_cbranch_execz .LBB17_752
; %bb.747:
	s_mov_b32 s8, 0x3c7fffff
	v_cmp_lt_u32_e32 vcc, s8, v4
                                        ; implicit-def: $vgpr1
	s_and_saveexec_b64 s[8:9], vcc
	s_xor_b64 s[8:9], exec, s[8:9]
; %bb.748:
	v_bfe_u32 v1, v0, 20, 1
	s_mov_b32 s10, 0x407ffff
	v_add3_u32 v1, v0, v1, s10
	v_lshrrev_b32_e32 v4, 20, v1
	v_and_b32_e32 v1, 0xff00000, v1
	s_mov_b32 s10, 0x7f00000
	v_mov_b32_e32 v5, 0x7e
	v_cmp_ne_u32_e32 vcc, s10, v1
	v_cndmask_b32_e32 v1, v5, v4, vcc
; %bb.749:
	s_andn2_saveexec_b64 s[8:9], s[8:9]
; %bb.750:
	s_mov_b32 s10, 0x46800000
	v_add_f32_e64 v1, |v0|, s10
; %bb.751:
	s_or_b64 exec, exec, s[8:9]
                                        ; implicit-def: $vgpr4
.LBB17_752:
	s_andn2_saveexec_b64 s[6:7], s[6:7]
; %bb.753:
	s_mov_b32 s8, 0x7f800000
	v_mov_b32_e32 v1, 0x7e
	v_mov_b32_e32 v5, 0x7f
	v_cmp_lt_u32_e32 vcc, s8, v4
	v_cndmask_b32_e32 v1, v1, v5, vcc
; %bb.754:
	s_or_b64 exec, exec, s[6:7]
	v_lshrrev_b32_e32 v4, 24, v0
	s_movk_i32 s6, 0x80
	v_and_or_b32 v1, v4, s6, v1
	global_store_byte v[2:3], v1, off
.LBB17_755:
	s_mov_b64 s[6:7], 0
.LBB17_756:
	s_andn2_b64 vcc, exec, s[6:7]
	s_cbranch_vccnz .LBB17_766
; %bb.757:
	v_and_b32_e32 v4, 0x7fffffff, v0
	s_mov_b32 s6, 0x47800000
	v_cmp_gt_u32_e32 vcc, s6, v4
                                        ; implicit-def: $vgpr1
	s_and_saveexec_b64 s[6:7], vcc
	s_xor_b64 s[6:7], exec, s[6:7]
	s_cbranch_execz .LBB17_763
; %bb.758:
	s_mov_b32 s8, 0x387fffff
	v_cmp_lt_u32_e32 vcc, s8, v4
                                        ; implicit-def: $vgpr1
	s_and_saveexec_b64 s[8:9], vcc
	s_xor_b64 s[8:9], exec, s[8:9]
; %bb.759:
	v_bfe_u32 v1, v0, 21, 1
	s_mov_b32 s10, 0x80fffff
	v_add3_u32 v1, v0, v1, s10
	v_lshrrev_b32_e32 v1, 21, v1
; %bb.760:
	s_andn2_saveexec_b64 s[8:9], s[8:9]
; %bb.761:
	s_mov_b32 s10, 0x43000000
	v_add_f32_e64 v1, |v0|, s10
; %bb.762:
	s_or_b64 exec, exec, s[8:9]
                                        ; implicit-def: $vgpr4
.LBB17_763:
	s_andn2_saveexec_b64 s[6:7], s[6:7]
; %bb.764:
	s_mov_b32 s8, 0x7f800000
	v_mov_b32_e32 v1, 0x7c
	v_mov_b32_e32 v5, 0x7f
	v_cmp_lt_u32_e32 vcc, s8, v4
	v_cndmask_b32_e32 v1, v1, v5, vcc
; %bb.765:
	s_or_b64 exec, exec, s[6:7]
	v_lshrrev_b32_e32 v4, 24, v0
	s_movk_i32 s6, 0x80
	v_and_or_b32 v1, v4, s6, v1
	global_store_byte v[2:3], v1, off
.LBB17_766:
	s_mov_b64 s[8:9], 0
	s_mov_b64 s[6:7], -1
.LBB17_767:
	s_andn2_b64 vcc, exec, s[8:9]
	s_cbranch_vccnz .LBB17_775
; %bb.768:
	v_mov_b32_e32 v1, 14
	v_cmp_gt_i16_sdwa s[10:11], v41, v1 src0_sel:BYTE_0 src1_sel:DWORD
	s_mov_b64 s[8:9], -1
	s_and_b64 vcc, exec, s[10:11]
	s_cbranch_vccz .LBB17_772
; %bb.769:
	v_mov_b32_e32 v1, 15
	v_cmp_eq_u16_sdwa s[8:9], v41, v1 src0_sel:BYTE_0 src1_sel:DWORD
	s_mov_b64 s[4:5], -1
	s_and_b64 vcc, exec, s[8:9]
	s_cbranch_vccz .LBB17_771
; %bb.770:
	v_bfe_u32 v1, v0, 16, 1
	s_movk_i32 s4, 0x7fff
	v_add3_u32 v1, v0, v1, s4
	v_lshrrev_b32_e32 v1, 16, v1
	v_mov_b32_e32 v4, 0x7fc0
	v_cmp_o_f32_e32 vcc, v0, v0
	v_cndmask_b32_e32 v1, v4, v1, vcc
	global_store_short v[2:3], v1, off
	s_mov_b64 s[6:7], -1
	s_mov_b64 s[4:5], 0
.LBB17_771:
	s_mov_b64 s[8:9], 0
.LBB17_772:
	s_and_b64 vcc, exec, s[8:9]
	s_cbranch_vccz .LBB17_775
; %bb.773:
	v_mov_b32_e32 v1, 11
	v_cmp_eq_u16_sdwa s[8:9], v41, v1 src0_sel:BYTE_0 src1_sel:DWORD
	s_mov_b64 s[4:5], -1
	s_and_b64 vcc, exec, s[8:9]
	s_cbranch_vccz .LBB17_775
; %bb.774:
	v_cmp_neq_f32_e32 vcc, 0, v0
	v_cndmask_b32_e64 v1, 0, 1, vcc
	s_mov_b64 s[6:7], -1
	s_mov_b64 s[4:5], 0
	global_store_byte v[2:3], v1, off
.LBB17_775:
	s_mov_b64 s[8:9], 0
.LBB17_776:
	s_and_b64 vcc, exec, s[8:9]
	s_cbranch_vccz .LBB17_815
; %bb.777:
	v_mov_b32_e32 v1, 5
	v_cmp_lt_i16_sdwa s[8:9], v41, v1 src0_sel:BYTE_0 src1_sel:DWORD
	s_mov_b64 s[6:7], -1
	s_and_b64 vcc, exec, s[8:9]
	s_cbranch_vccnz .LBB17_798
; %bb.778:
	v_mov_b32_e32 v1, 8
	v_cmp_lt_i16_sdwa s[8:9], v41, v1 src0_sel:BYTE_0 src1_sel:DWORD
	s_and_b64 vcc, exec, s[8:9]
	s_cbranch_vccnz .LBB17_788
; %bb.779:
	v_mov_b32_e32 v1, 9
	v_cmp_lt_i16_sdwa s[8:9], v41, v1 src0_sel:BYTE_0 src1_sel:DWORD
	s_and_b64 vcc, exec, s[8:9]
	s_cbranch_vccnz .LBB17_785
; %bb.780:
	v_cmp_gt_i16_sdwa s[8:9], v41, v1 src0_sel:BYTE_0 src1_sel:DWORD
	s_and_b64 vcc, exec, s[8:9]
	s_cbranch_vccz .LBB17_782
; %bb.781:
	v_mov_b32_e32 v6, 0
	v_cvt_f64_f32_e32 v[4:5], v0
	v_mov_b32_e32 v7, v6
	s_mov_b64 s[6:7], 0
	global_store_dwordx4 v[2:3], v[4:7], off
.LBB17_782:
	s_andn2_b64 vcc, exec, s[6:7]
	s_cbranch_vccnz .LBB17_784
; %bb.783:
	v_mov_b32_e32 v1, 0
	global_store_dwordx2 v[2:3], v[0:1], off
.LBB17_784:
	s_mov_b64 s[6:7], 0
.LBB17_785:
	s_andn2_b64 vcc, exec, s[6:7]
	s_cbranch_vccnz .LBB17_787
; %bb.786:
	v_cvt_f16_f32_e32 v1, v0
	global_store_dword v[2:3], v1, off
.LBB17_787:
	s_mov_b64 s[6:7], 0
.LBB17_788:
	s_andn2_b64 vcc, exec, s[6:7]
	s_cbranch_vccnz .LBB17_797
; %bb.789:
	v_mov_b32_e32 v1, 6
	v_cmp_lt_i16_sdwa s[8:9], v41, v1 src0_sel:BYTE_0 src1_sel:DWORD
	s_mov_b64 s[6:7], -1
	s_and_b64 vcc, exec, s[8:9]
	s_cbranch_vccnz .LBB17_795
; %bb.790:
	v_cmp_gt_i16_sdwa s[8:9], v41, v1 src0_sel:BYTE_0 src1_sel:DWORD
	s_and_b64 vcc, exec, s[8:9]
	s_cbranch_vccz .LBB17_792
; %bb.791:
	v_cvt_f64_f32_e32 v[4:5], v0
	s_mov_b64 s[6:7], 0
	global_store_dwordx2 v[2:3], v[4:5], off
.LBB17_792:
	s_andn2_b64 vcc, exec, s[6:7]
	s_cbranch_vccnz .LBB17_794
; %bb.793:
	global_store_dword v[2:3], v0, off
.LBB17_794:
	s_mov_b64 s[6:7], 0
.LBB17_795:
	s_andn2_b64 vcc, exec, s[6:7]
	s_cbranch_vccnz .LBB17_797
; %bb.796:
	v_cvt_f16_f32_e32 v1, v0
	global_store_short v[2:3], v1, off
.LBB17_797:
	s_mov_b64 s[6:7], 0
.LBB17_798:
	s_andn2_b64 vcc, exec, s[6:7]
	s_cbranch_vccnz .LBB17_814
; %bb.799:
	v_mov_b32_e32 v1, 2
	v_cmp_lt_i16_sdwa s[8:9], v41, v1 src0_sel:BYTE_0 src1_sel:DWORD
	s_mov_b64 s[6:7], -1
	s_and_b64 vcc, exec, s[8:9]
	s_cbranch_vccnz .LBB17_809
; %bb.800:
	v_mov_b32_e32 v1, 3
	v_cmp_lt_i16_sdwa s[8:9], v41, v1 src0_sel:BYTE_0 src1_sel:DWORD
	s_and_b64 vcc, exec, s[8:9]
	s_cbranch_vccnz .LBB17_806
; %bb.801:
	v_cmp_gt_i16_sdwa s[8:9], v41, v1 src0_sel:BYTE_0 src1_sel:DWORD
	s_and_b64 vcc, exec, s[8:9]
	s_cbranch_vccz .LBB17_803
; %bb.802:
	v_trunc_f32_e32 v1, v0
	s_mov_b32 s6, 0x2f800000
	v_mul_f32_e64 v4, |v1|, s6
	v_floor_f32_e32 v4, v4
	s_mov_b32 s6, 0xcf800000
	v_cvt_u32_f32_e32 v5, v4
	v_fma_f32 v4, v4, s6, |v1|
	v_cvt_u32_f32_e32 v4, v4
	v_ashrrev_i32_e32 v1, 31, v1
	v_xor_b32_e32 v5, v5, v1
	s_mov_b64 s[6:7], 0
	v_xor_b32_e32 v4, v4, v1
	v_sub_co_u32_e32 v4, vcc, v4, v1
	v_subb_co_u32_e32 v5, vcc, v5, v1, vcc
	global_store_dwordx2 v[2:3], v[4:5], off
.LBB17_803:
	s_andn2_b64 vcc, exec, s[6:7]
	s_cbranch_vccnz .LBB17_805
; %bb.804:
	v_cvt_i32_f32_e32 v1, v0
	global_store_dword v[2:3], v1, off
.LBB17_805:
	s_mov_b64 s[6:7], 0
.LBB17_806:
	s_andn2_b64 vcc, exec, s[6:7]
	s_cbranch_vccnz .LBB17_808
; %bb.807:
	v_cvt_i32_f32_e32 v1, v0
	global_store_short v[2:3], v1, off
.LBB17_808:
	s_mov_b64 s[6:7], 0
.LBB17_809:
	s_andn2_b64 vcc, exec, s[6:7]
	s_cbranch_vccnz .LBB17_814
; %bb.810:
	v_mov_b32_e32 v1, 0
	v_cmp_gt_i16_sdwa s[8:9], v41, v1 src0_sel:BYTE_0 src1_sel:DWORD
	s_mov_b64 s[6:7], -1
	s_and_b64 vcc, exec, s[8:9]
	s_cbranch_vccz .LBB17_812
; %bb.811:
	v_cvt_i32_f32_e32 v1, v0
	s_mov_b64 s[6:7], 0
	global_store_byte v[2:3], v1, off
.LBB17_812:
	s_andn2_b64 vcc, exec, s[6:7]
	s_cbranch_vccnz .LBB17_814
; %bb.813:
	v_trunc_f32_e32 v0, v0
	s_mov_b32 s6, 0x2f800000
	v_mul_f32_e64 v1, |v0|, s6
	v_floor_f32_e32 v1, v1
	s_mov_b32 s6, 0xcf800000
	v_fma_f32 v1, v1, s6, |v0|
	v_cvt_u32_f32_e32 v1, v1
	v_ashrrev_i32_e32 v0, 31, v0
	v_xor_b32_e32 v1, v1, v0
	v_sub_u32_e32 v0, v1, v0
	global_store_byte v[2:3], v0, off
.LBB17_814:
	s_mov_b64 s[6:7], -1
.LBB17_815:
	s_andn2_b64 vcc, exec, s[6:7]
	s_cbranch_vccnz .LBB17_817
; %bb.816:
	v_add_u32_e32 v45, 0x80, v45
	s_mov_b64 s[6:7], -1
	s_branch .LBB17_819
.LBB17_817:
	s_mov_b64 s[6:7], 0
.LBB17_818:
                                        ; implicit-def: $vgpr45
.LBB17_819:
	s_andn2_b64 s[8:9], s[74:75], exec
	s_and_b64 s[4:5], s[4:5], exec
	s_or_b64 s[26:27], s[8:9], s[4:5]
	s_andn2_b64 s[4:5], s[72:73], exec
	s_and_b64 s[8:9], s[80:81], exec
	s_or_b64 s[24:25], s[4:5], s[8:9]
	s_orn2_b64 s[6:7], s[6:7], exec
.LBB17_820:
	s_or_b64 exec, exec, s[78:79]
	s_mov_b64 s[4:5], 0
	s_mov_b64 s[8:9], 0
	;; [unrolled: 1-line block ×3, first 2 shown]
                                        ; implicit-def: $vgpr2_vgpr3
                                        ; implicit-def: $vgpr42
                                        ; implicit-def: $vgpr1
	s_and_saveexec_b64 s[28:29], s[6:7]
	s_cbranch_execz .LBB17_920
; %bb.821:
	v_cmp_gt_i32_e32 vcc, s84, v45
	s_mov_b64 s[6:7], 0
	s_mov_b64 s[12:13], s[24:25]
                                        ; implicit-def: $vgpr2_vgpr3
                                        ; implicit-def: $vgpr42
                                        ; implicit-def: $vgpr1
	s_and_saveexec_b64 s[30:31], vcc
	s_cbranch_execz .LBB17_919
; %bb.822:
	s_andn2_b64 vcc, exec, s[54:55]
	s_cbranch_vccnz .LBB17_828
; %bb.823:
	s_mov_b32 s34, 0
	s_andn2_b64 vcc, exec, s[64:65]
	s_waitcnt vmcnt(0)
	v_mov_b32_e32 v0, 0
	v_mov_b32_e32 v42, 0
	s_cbranch_vccnz .LBB17_834
; %bb.824:
	s_add_i32 s85, s85, 1
	s_cmp_eq_u32 s83, 2
	s_cbranch_scc1 .LBB17_829
; %bb.825:
	s_and_b32 s34, s85, 28
	s_mov_b32 s33, 0
	v_mov_b32_e32 v42, 0
	s_mov_b64 s[64:65], s[38:39]
	v_mov_b32_e32 v1, v45
	v_mov_b32_e32 v0, 0
.LBB17_826:                             ; =>This Inner Loop Header: Depth=1
	s_load_dwordx8 s[12:19], s[64:65], 0x4
	s_load_dwordx4 s[20:23], s[64:65], 0x24
	s_load_dwordx8 s[4:11], s[62:63], 0x0
	s_add_u32 s64, s64, 48
	s_addc_u32 s65, s65, 0
	s_waitcnt lgkmcnt(0)
	v_mul_hi_u32 v2, s13, v1
	v_add_u32_e32 v2, v1, v2
	v_lshrrev_b32_e32 v2, s14, v2
	v_mul_lo_u32 v3, v2, s12
	v_mul_hi_u32 v4, s16, v2
	v_sub_u32_e32 v1, v1, v3
	v_add_u32_e32 v3, v2, v4
	v_lshrrev_b32_e32 v3, s17, v3
	v_mul_lo_u32 v5, v3, s15
	v_mul_hi_u32 v6, s19, v3
	v_sub_u32_e32 v2, v2, v5
	v_add_u32_e32 v5, v3, v6
	v_mul_lo_u32 v4, v1, s5
	v_mul_lo_u32 v1, v1, s4
	;; [unrolled: 1-line block ×4, first 2 shown]
	v_lshrrev_b32_e32 v5, s20, v5
	v_add3_u32 v2, v1, v42, v2
	v_add3_u32 v0, v4, v0, v6
	v_mul_lo_u32 v1, v5, s18
	v_mul_hi_u32 v4, s22, v5
	v_sub_u32_e32 v1, v3, v1
	v_add_u32_e32 v3, v5, v4
	v_mul_lo_u32 v4, v1, s8
	v_mul_lo_u32 v6, v1, s9
	v_lshrrev_b32_e32 v1, s23, v3
	s_add_i32 s33, s33, 4
	v_mul_lo_u32 v3, v1, s21
	s_add_u32 s62, s62, 32
	v_sub_u32_e32 v3, v5, v3
	s_addc_u32 s63, s63, 0
	v_mul_lo_u32 v5, v3, s10
	v_mul_lo_u32 v3, v3, s11
	s_cmp_eq_u32 s34, s33
	v_add3_u32 v0, v6, v0, v3
	v_add3_u32 v42, v4, v2, v5
	s_cbranch_scc0 .LBB17_826
; %bb.827:
	v_mov_b32_e32 v43, v0
	s_branch .LBB17_830
.LBB17_828:
	s_mov_b64 s[4:5], -1
                                        ; implicit-def: $vgpr0
                                        ; implicit-def: $vgpr42
	s_branch .LBB17_835
.LBB17_829:
	s_mov_b32 s35, s34
	v_pk_mov_b32 v[42:43], s[34:35], s[34:35] op_sel:[0,1]
                                        ; implicit-def: $vgpr0
	v_mov_b32_e32 v1, v45
.LBB17_830:
	s_and_b32 s8, s85, 3
	s_cmp_eq_u32 s8, 0
	s_cbranch_scc1 .LBB17_834
; %bb.831:
	s_lshl_b32 s4, s34, 3
	s_add_u32 s4, s4, s38
	s_addc_u32 s5, s39, 0
	s_add_u32 s4, s4, 0xc4
	s_addc_u32 s5, s5, 0
	s_mul_i32 s6, s34, 12
	s_add_u32 s6, s38, s6
	s_addc_u32 s7, s39, 0
.LBB17_832:                             ; =>This Inner Loop Header: Depth=1
	s_load_dwordx2 s[10:11], s[6:7], 0x4
	s_load_dword s9, s[6:7], 0xc
	s_load_dwordx2 s[12:13], s[4:5], 0x0
	s_add_u32 s6, s6, 12
	s_addc_u32 s7, s7, 0
	s_waitcnt lgkmcnt(0)
	v_mul_hi_u32 v2, s11, v1
	v_add_u32_e32 v2, v1, v2
	v_lshrrev_b32_e32 v2, s9, v2
	v_mul_lo_u32 v3, v2, s10
	v_mov_b32_e32 v0, v43
	s_add_u32 s4, s4, 8
	v_sub_u32_e32 v4, v1, v3
	v_mov_b32_e32 v1, v2
	s_addc_u32 s5, s5, 0
	s_add_i32 s8, s8, -1
	v_mad_u64_u32 v[2:3], s[10:11], v4, s13, v[0:1]
	v_mad_u64_u32 v[42:43], s[10:11], v4, s12, v[42:43]
	s_cmp_lg_u32 s8, 0
	v_mov_b32_e32 v43, v2
	s_cbranch_scc1 .LBB17_832
; %bb.833:
	v_mov_b32_e32 v0, v43
.LBB17_834:
	s_mov_b64 s[4:5], 0
.LBB17_835:
	s_andn2_b64 vcc, exec, s[4:5]
	s_cbranch_vccnz .LBB17_838
; %bb.836:
	s_waitcnt vmcnt(0) lgkmcnt(0)
	v_mul_hi_u32 v0, s49, v45
	v_add_u32_e32 v0, v45, v0
	v_lshrrev_b32_e32 v1, s50, v0
	v_mul_lo_u32 v0, v1, s48
	v_sub_u32_e32 v2, v45, v0
	v_mul_lo_u32 v0, v2, s45
	s_andn2_b64 vcc, exec, s[60:61]
	v_mul_lo_u32 v42, v2, s44
	s_cbranch_vccnz .LBB17_838
; %bb.837:
	v_mul_hi_u32 v2, s58, v1
	v_add_u32_e32 v2, v1, v2
	v_lshrrev_b32_e32 v2, s59, v2
	v_mul_lo_u32 v2, v2, s51
	v_sub_u32_e32 v1, v1, v2
	v_mad_u64_u32 v[42:43], s[4:5], v1, s46, v[42:43]
	v_mad_u64_u32 v[0:1], s[4:5], v1, s47, v[0:1]
.LBB17_838:
	s_waitcnt lgkmcnt(0)
	v_mov_b32_e32 v1, s43
	s_waitcnt vmcnt(0)
	v_add_co_u32_e32 v2, vcc, s42, v0
	v_addc_co_u32_e32 v3, vcc, 0, v1, vcc
	v_cmp_gt_i16_e32 vcc, 11, v44
	s_cbranch_vccnz .LBB17_845
; %bb.839:
	v_cmp_lt_i16_e32 vcc, 25, v44
	s_mov_b64 s[6:7], 0
	s_cbranch_vccz .LBB17_846
; %bb.840:
	v_cmp_lt_i16_e32 vcc, 28, v44
	s_cbranch_vccz .LBB17_847
; %bb.841:
	v_cmp_lt_i16_e32 vcc, 43, v44
	;; [unrolled: 3-line block ×3, first 2 shown]
	s_cbranch_vccz .LBB17_851
; %bb.843:
	v_cmp_eq_u16_e32 vcc, 46, v44
	s_mov_b64 s[10:11], 0
	s_cbranch_vccz .LBB17_854
; %bb.844:
	global_load_dword v0, v[2:3], off
	s_mov_b64 s[4:5], 0
	s_mov_b64 s[8:9], -1
	s_waitcnt vmcnt(0)
	v_lshlrev_b32_e32 v1, 16, v0
	s_branch .LBB17_855
.LBB17_845:
	s_mov_b64 s[12:13], -1
	s_mov_b64 s[8:9], 0
	s_mov_b64 s[6:7], 0
	;; [unrolled: 1-line block ×3, first 2 shown]
                                        ; implicit-def: $vgpr1
	s_branch .LBB17_918
.LBB17_846:
	s_mov_b64 s[10:11], -1
	s_mov_b64 s[8:9], 0
	s_mov_b64 s[4:5], s[24:25]
                                        ; implicit-def: $vgpr1
	s_branch .LBB17_884
.LBB17_847:
	s_mov_b64 s[10:11], -1
	s_mov_b64 s[8:9], 0
	s_mov_b64 s[4:5], s[24:25]
                                        ; implicit-def: $vgpr1
	s_branch .LBB17_865
.LBB17_848:
	s_mov_b64 s[10:11], -1
	s_mov_b64 s[8:9], 0
	s_mov_b64 s[4:5], s[24:25]
                                        ; implicit-def: $vgpr1
	s_branch .LBB17_860
.LBB17_849:
	s_or_saveexec_b64 s[10:11], s[10:11]
                                        ; implicit-def: $sgpr12
	s_xor_b64 exec, exec, s[10:11]
	s_cbranch_execz .LBB17_728
.LBB17_850:
	s_mov_b32 s12, 0x46000000
	v_add_f32_e64 v1, |v0|, s12
	v_and_b32_e32 v1, 0xff, v1
	v_cmp_ne_u32_e32 vcc, 0, v1
	s_andn2_b64 s[8:9], s[8:9], exec
	s_and_b64 s[14:15], vcc, exec
	s_mov_b32 s12, 0
	s_or_b64 s[8:9], s[8:9], s[14:15]
	s_or_b64 exec, exec, s[10:11]
	v_mov_b32_e32 v4, s12
	s_and_saveexec_b64 s[10:11], s[8:9]
	s_cbranch_execnz .LBB17_729
	s_branch .LBB17_730
.LBB17_851:
	s_mov_b64 s[10:11], -1
	s_mov_b64 s[8:9], 0
	s_mov_b64 s[4:5], s[24:25]
                                        ; implicit-def: $vgpr1
	s_branch .LBB17_855
.LBB17_852:
	s_or_saveexec_b64 s[10:11], s[10:11]
                                        ; implicit-def: $sgpr12
	s_xor_b64 exec, exec, s[10:11]
	s_cbranch_execz .LBB17_741
.LBB17_853:
	s_mov_b32 s12, 0x42800000
	v_add_f32_e64 v1, |v0|, s12
	v_and_b32_e32 v1, 0xff, v1
	v_cmp_ne_u32_e32 vcc, 0, v1
	s_andn2_b64 s[8:9], s[8:9], exec
	s_and_b64 s[14:15], vcc, exec
	s_mov_b32 s12, 0
	s_or_b64 s[8:9], s[8:9], s[14:15]
	s_or_b64 exec, exec, s[10:11]
	v_mov_b32_e32 v4, s12
	s_and_saveexec_b64 s[10:11], s[8:9]
	s_cbranch_execnz .LBB17_742
	s_branch .LBB17_743
.LBB17_854:
	s_mov_b64 s[4:5], -1
                                        ; implicit-def: $vgpr1
	s_mov_b64 s[8:9], 0
.LBB17_855:
	s_and_b64 vcc, exec, s[10:11]
	s_cbranch_vccz .LBB17_859
; %bb.856:
	v_cmp_eq_u16_e32 vcc, 44, v44
	s_cbranch_vccz .LBB17_858
; %bb.857:
	global_load_ubyte v0, v[2:3], off
	s_movk_i32 s8, 0xff
	v_mov_b32_e32 v1, 0x7f800001
	v_mov_b32_e32 v4, 0x400000
	s_mov_b64 s[4:5], 0
	s_waitcnt vmcnt(0)
	v_lshlrev_b32_e32 v5, 23, v0
	v_cmp_ne_u32_e32 vcc, s8, v0
	v_cndmask_b32_e32 v1, v1, v5, vcc
	v_cmp_ne_u32_e32 vcc, 0, v0
	v_cndmask_b32_e32 v1, v4, v1, vcc
	s_mov_b64 s[8:9], -1
	s_branch .LBB17_859
.LBB17_858:
	s_mov_b64 s[4:5], -1
                                        ; implicit-def: $vgpr1
.LBB17_859:
	s_mov_b64 s[10:11], 0
.LBB17_860:
	s_and_b64 vcc, exec, s[10:11]
	s_cbranch_vccz .LBB17_864
; %bb.861:
	v_cmp_eq_u16_e32 vcc, 29, v44
	s_cbranch_vccz .LBB17_863
; %bb.862:
	global_load_dwordx2 v[0:1], v[2:3], off
	s_mov_b64 s[4:5], 0
	s_mov_b64 s[8:9], -1
	s_mov_b64 s[10:11], 0
	s_waitcnt vmcnt(0)
	v_ffbh_u32_e32 v4, v1
	v_min_u32_e32 v4, 32, v4
	v_lshlrev_b64 v[0:1], v4, v[0:1]
	v_min_u32_e32 v0, 1, v0
	v_or_b32_e32 v0, v1, v0
	v_cvt_f32_u32_e32 v0, v0
	v_sub_u32_e32 v1, 32, v4
	v_ldexp_f32 v1, v0, v1
	s_branch .LBB17_865
.LBB17_863:
	s_mov_b64 s[4:5], -1
                                        ; implicit-def: $vgpr1
.LBB17_864:
	s_mov_b64 s[10:11], 0
.LBB17_865:
	s_and_b64 vcc, exec, s[10:11]
	s_cbranch_vccz .LBB17_883
; %bb.866:
	v_cmp_gt_i16_e32 vcc, 27, v44
	s_cbranch_vccnz .LBB17_869
; %bb.867:
	v_cmp_lt_i16_e32 vcc, 27, v44
	s_cbranch_vccz .LBB17_870
; %bb.868:
	global_load_dword v0, v[2:3], off
	s_mov_b64 s[8:9], 0
	s_waitcnt vmcnt(0)
	v_cvt_f32_u32_e32 v1, v0
	s_branch .LBB17_871
.LBB17_869:
	s_mov_b64 s[8:9], -1
                                        ; implicit-def: $vgpr1
	s_branch .LBB17_874
.LBB17_870:
	s_mov_b64 s[8:9], -1
                                        ; implicit-def: $vgpr1
.LBB17_871:
	s_andn2_b64 vcc, exec, s[8:9]
	s_cbranch_vccnz .LBB17_873
; %bb.872:
	global_load_ushort v0, v[2:3], off
	s_waitcnt vmcnt(0)
	v_cvt_f32_u32_e32 v1, v0
.LBB17_873:
	s_mov_b64 s[8:9], 0
.LBB17_874:
	s_andn2_b64 vcc, exec, s[8:9]
	s_cbranch_vccnz .LBB17_882
; %bb.875:
	global_load_ubyte v0, v[2:3], off
	s_movk_i32 s8, 0x7f
                                        ; implicit-def: $sgpr14
	s_waitcnt vmcnt(0)
	v_cmp_lt_i16_e32 vcc, s8, v0
	s_mov_b64 s[8:9], 0
	s_and_saveexec_b64 s[10:11], vcc
	s_xor_b64 s[10:11], exec, s[10:11]
	s_cbranch_execz .LBB17_896
; %bb.876:
	s_movk_i32 s8, 0x80
	v_cmp_eq_u16_e32 vcc, s8, v0
	s_mov_b64 s[8:9], -1
                                        ; implicit-def: $sgpr14
	s_and_saveexec_b64 s[12:13], vcc
; %bb.877:
	s_mov_b32 s14, 0x7f800001
	s_xor_b64 s[8:9], exec, -1
; %bb.878:
	s_or_b64 exec, exec, s[12:13]
	s_and_b64 s[8:9], s[8:9], exec
	s_or_saveexec_b64 s[10:11], s[10:11]
	v_mov_b32_e32 v1, s14
	s_xor_b64 exec, exec, s[10:11]
	s_cbranch_execnz .LBB17_897
.LBB17_879:
	s_or_b64 exec, exec, s[10:11]
	s_and_saveexec_b64 s[10:11], s[8:9]
	s_cbranch_execz .LBB17_881
.LBB17_880:
	v_lshlrev_b32_e32 v1, 24, v0
	v_and_b32_e32 v0, 0xffff, v0
	v_and_b32_e32 v4, 7, v0
	v_ffbh_u32_e32 v6, v4
	v_min_u32_e32 v6, 32, v6
	v_subrev_u32_e32 v7, 28, v6
	v_bfe_u32 v5, v0, 3, 4
	v_lshlrev_b32_e32 v0, v7, v0
	v_sub_u32_e32 v6, 29, v6
	v_and_b32_e32 v0, 7, v0
	v_cmp_eq_u32_e32 vcc, 0, v5
	v_cndmask_b32_e32 v5, v5, v6, vcc
	v_cndmask_b32_e32 v0, v4, v0, vcc
	v_mov_b32_e32 v4, 0x3b800000
	v_lshlrev_b32_e32 v0, 20, v0
	v_and_b32_e32 v1, 0x80000000, v1
	v_lshl_add_u32 v4, v5, 23, v4
	v_or3_b32 v1, v1, v4, v0
.LBB17_881:
	s_or_b64 exec, exec, s[10:11]
.LBB17_882:
	s_mov_b64 s[8:9], -1
.LBB17_883:
	s_mov_b64 s[10:11], 0
.LBB17_884:
	s_and_b64 vcc, exec, s[10:11]
	s_cbranch_vccz .LBB17_917
; %bb.885:
	v_cmp_lt_i16_e32 vcc, 22, v44
	s_cbranch_vccz .LBB17_895
; %bb.886:
	v_cmp_gt_i16_e32 vcc, 24, v44
	s_cbranch_vccnz .LBB17_898
; %bb.887:
	v_cmp_lt_i16_e32 vcc, 24, v44
	s_cbranch_vccz .LBB17_899
; %bb.888:
	global_load_ubyte v0, v[2:3], off
	s_movk_i32 s6, 0x7f
                                        ; implicit-def: $sgpr12
	s_waitcnt vmcnt(0)
	v_cmp_lt_i16_e32 vcc, s6, v0
	s_mov_b64 s[6:7], 0
	s_and_saveexec_b64 s[8:9], vcc
	s_xor_b64 s[8:9], exec, s[8:9]
	s_cbranch_execz .LBB17_911
; %bb.889:
	s_movk_i32 s6, 0x80
	v_cmp_eq_u16_e32 vcc, s6, v0
	s_mov_b64 s[6:7], -1
                                        ; implicit-def: $sgpr12
	s_and_saveexec_b64 s[10:11], vcc
; %bb.890:
	s_mov_b32 s12, 0x7f800001
	s_xor_b64 s[6:7], exec, -1
; %bb.891:
	s_or_b64 exec, exec, s[10:11]
	s_and_b64 s[6:7], s[6:7], exec
	s_or_saveexec_b64 s[8:9], s[8:9]
	v_mov_b32_e32 v1, s12
	s_xor_b64 exec, exec, s[8:9]
	s_cbranch_execnz .LBB17_912
.LBB17_892:
	s_or_b64 exec, exec, s[8:9]
	s_and_saveexec_b64 s[8:9], s[6:7]
	s_cbranch_execz .LBB17_894
.LBB17_893:
	v_lshlrev_b32_e32 v1, 24, v0
	v_and_b32_e32 v0, 0xffff, v0
	v_and_b32_e32 v4, 3, v0
	v_ffbh_u32_e32 v6, v4
	v_min_u32_e32 v6, 32, v6
	v_subrev_u32_e32 v7, 29, v6
	v_bfe_u32 v5, v0, 2, 5
	v_lshlrev_b32_e32 v0, v7, v0
	v_sub_u32_e32 v6, 30, v6
	v_and_b32_e32 v0, 3, v0
	v_cmp_eq_u32_e32 vcc, 0, v5
	v_cndmask_b32_e32 v5, v5, v6, vcc
	v_cndmask_b32_e32 v0, v4, v0, vcc
	v_mov_b32_e32 v4, 0x37800000
	v_lshlrev_b32_e32 v0, 21, v0
	v_and_b32_e32 v1, 0x80000000, v1
	v_lshl_add_u32 v4, v5, 23, v4
	v_or3_b32 v1, v1, v4, v0
.LBB17_894:
	s_or_b64 exec, exec, s[8:9]
	s_mov_b64 s[6:7], 0
	s_branch .LBB17_900
.LBB17_895:
	s_mov_b64 s[6:7], -1
                                        ; implicit-def: $vgpr1
	s_branch .LBB17_906
.LBB17_896:
	s_or_saveexec_b64 s[10:11], s[10:11]
	v_mov_b32_e32 v1, s14
	s_xor_b64 exec, exec, s[10:11]
	s_cbranch_execz .LBB17_879
.LBB17_897:
	v_cmp_ne_u16_e32 vcc, 0, v0
	s_andn2_b64 s[8:9], s[8:9], exec
	s_and_b64 s[12:13], vcc, exec
	v_mov_b32_e32 v1, 0
	s_or_b64 s[8:9], s[8:9], s[12:13]
	s_or_b64 exec, exec, s[10:11]
	s_and_saveexec_b64 s[10:11], s[8:9]
	s_cbranch_execnz .LBB17_880
	s_branch .LBB17_881
.LBB17_898:
	s_mov_b64 s[6:7], -1
                                        ; implicit-def: $vgpr1
	s_branch .LBB17_903
.LBB17_899:
	s_mov_b64 s[6:7], -1
                                        ; implicit-def: $vgpr1
.LBB17_900:
	s_and_b64 vcc, exec, s[6:7]
	s_cbranch_vccz .LBB17_902
; %bb.901:
	global_load_ubyte v0, v[2:3], off
	s_mov_b32 s6, 0x7f800000
	s_waitcnt vmcnt(0)
	v_lshlrev_b32_e32 v0, 24, v0
	v_and_b32_e32 v1, 0x7f000000, v0
	v_ffbh_u32_e32 v4, v1
	v_min_u32_e32 v4, 32, v4
	v_sub_u32_e64 v4, v4, 4 clamp
	v_lshlrev_b32_e32 v6, v4, v1
	v_lshlrev_b32_e32 v4, 23, v4
	v_lshrrev_b32_e32 v6, 4, v6
	v_add_u32_e32 v5, 0x1000000, v1
	v_sub_u32_e32 v4, v6, v4
	v_ashrrev_i32_e32 v5, 8, v5
	v_add_u32_e32 v4, 0x3c000000, v4
	v_and_or_b32 v4, v5, s6, v4
	v_cmp_ne_u32_e32 vcc, 0, v1
	v_cndmask_b32_e32 v1, 0, v4, vcc
	s_brev_b32 s6, 1
	v_and_or_b32 v1, v0, s6, v1
.LBB17_902:
	s_mov_b64 s[6:7], 0
.LBB17_903:
	s_andn2_b64 vcc, exec, s[6:7]
	s_cbranch_vccnz .LBB17_905
; %bb.904:
	global_load_ubyte v0, v[2:3], off
	s_movk_i32 s6, 0x7f00
	s_brev_b32 s7, 16
	s_waitcnt vmcnt(0)
	v_lshlrev_b16_e32 v1, 8, v0
	v_lshlrev_b32_e32 v0, 25, v0
	v_lshrrev_b32_e32 v4, 4, v0
	v_and_or_b32 v5, v1, s6, 0.5
	v_or_b32_e32 v4, 0x70000000, v4
	v_add_f32_e32 v5, -0.5, v5
	v_mul_f32_e32 v4, 0x7800000, v4
	v_cmp_gt_u32_e32 vcc, s7, v0
	v_bfe_i32 v1, v1, 0, 16
	v_cndmask_b32_e32 v0, v4, v5, vcc
	s_brev_b32 s6, 1
	v_and_or_b32 v1, v1, s6, v0
.LBB17_905:
	s_mov_b64 s[6:7], 0
	s_mov_b64 s[8:9], -1
.LBB17_906:
	s_andn2_b64 vcc, exec, s[6:7]
	s_mov_b64 s[6:7], 0
	s_cbranch_vccnz .LBB17_917
; %bb.907:
	v_cmp_lt_i16_e32 vcc, 14, v44
	s_cbranch_vccz .LBB17_910
; %bb.908:
	v_cmp_eq_u16_e32 vcc, 15, v44
	s_cbranch_vccz .LBB17_913
; %bb.909:
	global_load_ushort v0, v[2:3], off
	s_mov_b64 s[4:5], 0
	s_mov_b64 s[8:9], -1
	s_waitcnt vmcnt(0)
	v_lshlrev_b32_e32 v1, 16, v0
	s_branch .LBB17_914
.LBB17_910:
	s_mov_b64 s[10:11], -1
                                        ; implicit-def: $vgpr1
	s_branch .LBB17_915
.LBB17_911:
	s_or_saveexec_b64 s[8:9], s[8:9]
	v_mov_b32_e32 v1, s12
	s_xor_b64 exec, exec, s[8:9]
	s_cbranch_execz .LBB17_892
.LBB17_912:
	v_cmp_ne_u16_e32 vcc, 0, v0
	s_andn2_b64 s[6:7], s[6:7], exec
	s_and_b64 s[10:11], vcc, exec
	v_mov_b32_e32 v1, 0
	s_or_b64 s[6:7], s[6:7], s[10:11]
	s_or_b64 exec, exec, s[8:9]
	s_and_saveexec_b64 s[8:9], s[6:7]
	s_cbranch_execnz .LBB17_893
	s_branch .LBB17_894
.LBB17_913:
	s_mov_b64 s[4:5], -1
                                        ; implicit-def: $vgpr1
.LBB17_914:
	s_mov_b64 s[10:11], 0
.LBB17_915:
	s_and_b64 vcc, exec, s[10:11]
	s_cbranch_vccz .LBB17_917
; %bb.916:
	v_cmp_ne_u16_e32 vcc, 11, v44
	s_andn2_b64 s[4:5], s[4:5], exec
	s_and_b64 s[10:11], vcc, exec
	s_mov_b64 s[6:7], -1
	s_or_b64 s[4:5], s[4:5], s[10:11]
                                        ; implicit-def: $vgpr1
.LBB17_917:
	s_mov_b64 s[12:13], 0
.LBB17_918:
	s_and_b64 s[10:11], s[8:9], exec
	s_and_b64 s[8:9], s[12:13], exec
	s_andn2_b64 s[12:13], s[24:25], exec
	s_and_b64 s[4:5], s[4:5], exec
	s_and_b64 s[6:7], s[6:7], exec
	s_or_b64 s[12:13], s[12:13], s[4:5]
.LBB17_919:
	s_or_b64 exec, exec, s[30:31]
	s_and_b64 s[4:5], s[6:7], exec
	s_andn2_b64 s[6:7], s[24:25], exec
	s_and_b64 s[12:13], s[12:13], exec
	s_and_b64 s[10:11], s[10:11], exec
	s_and_b64 s[8:9], s[8:9], exec
	s_or_b64 s[24:25], s[6:7], s[12:13]
.LBB17_920:
	s_or_b64 exec, exec, s[28:29]
	s_andn2_b64 s[6:7], s[74:75], exec
	s_and_b64 s[12:13], s[26:27], exec
	s_or_b64 s[74:75], s[6:7], s[12:13]
	s_and_b64 s[6:7], s[4:5], exec
	s_andn2_b64 s[4:5], s[72:73], exec
	s_and_b64 s[12:13], s[24:25], exec
	s_and_b64 s[10:11], s[10:11], exec
	;; [unrolled: 1-line block ×3, first 2 shown]
	s_or_b64 s[72:73], s[4:5], s[12:13]
.LBB17_921:
	s_or_b64 exec, exec, s[76:77]
	s_andn2_b64 s[4:5], s[66:67], exec
	s_and_b64 s[12:13], s[74:75], exec
	s_or_b64 s[66:67], s[4:5], s[12:13]
	s_and_b64 s[4:5], s[10:11], exec
	s_and_b64 s[74:75], s[6:7], exec
	s_andn2_b64 s[6:7], s[68:69], exec
	s_and_b64 s[10:11], s[72:73], exec
	s_and_b64 s[8:9], s[8:9], exec
	s_or_b64 s[68:69], s[6:7], s[10:11]
	s_or_b64 exec, exec, s[70:71]
	s_waitcnt lgkmcnt(0)
	s_mov_b64 s[42:43], 0
	s_and_saveexec_b64 s[6:7], s[68:69]
	s_cbranch_execz .LBB17_276
.LBB17_922:
	s_mov_b64 s[42:43], exec
	s_andn2_b64 s[74:75], s[74:75], exec
	s_trap 2
                                        ; implicit-def: $vgpr1
	s_or_b64 exec, exec, s[6:7]
	s_and_saveexec_b64 s[6:7], s[74:75]
	s_xor_b64 s[6:7], exec, s[6:7]
	s_cbranch_execnz .LBB17_277
.LBB17_923:
	s_or_b64 exec, exec, s[6:7]
	s_and_saveexec_b64 s[6:7], s[8:9]
	s_cbranch_execz .LBB17_969
.LBB17_924:
	v_cmp_gt_i16_e32 vcc, 5, v44
	s_cbranch_vccnz .LBB17_929
; %bb.925:
	v_cmp_gt_i16_e32 vcc, 8, v44
	s_cbranch_vccnz .LBB17_930
; %bb.926:
	v_cmp_gt_i16_e32 vcc, 9, v44
	s_cbranch_vccnz .LBB17_931
; %bb.927:
	v_cmp_lt_i16_e32 vcc, 9, v44
	s_cbranch_vccz .LBB17_932
; %bb.928:
	global_load_dwordx2 v[0:1], v[2:3], off
	s_mov_b64 s[8:9], 0
	s_waitcnt vmcnt(0)
	v_cvt_f32_f64_e32 v1, v[0:1]
	s_branch .LBB17_933
.LBB17_929:
                                        ; implicit-def: $vgpr1
	s_branch .LBB17_950
.LBB17_930:
                                        ; implicit-def: $vgpr1
	s_branch .LBB17_939
.LBB17_931:
	s_mov_b64 s[8:9], -1
                                        ; implicit-def: $vgpr1
	s_branch .LBB17_936
.LBB17_932:
	s_mov_b64 s[8:9], -1
                                        ; implicit-def: $vgpr1
.LBB17_933:
	s_andn2_b64 vcc, exec, s[8:9]
	s_cbranch_vccnz .LBB17_935
; %bb.934:
	global_load_dword v1, v[2:3], off
.LBB17_935:
	s_mov_b64 s[8:9], 0
.LBB17_936:
	s_andn2_b64 vcc, exec, s[8:9]
	s_cbranch_vccnz .LBB17_938
; %bb.937:
	global_load_dword v0, v[2:3], off
	s_waitcnt vmcnt(0)
	v_cvt_f32_f16_e32 v1, v0
.LBB17_938:
	s_cbranch_execnz .LBB17_949
.LBB17_939:
	v_cmp_gt_i16_e32 vcc, 6, v44
	s_cbranch_vccnz .LBB17_942
; %bb.940:
	v_cmp_lt_i16_e32 vcc, 6, v44
	s_cbranch_vccz .LBB17_943
; %bb.941:
	global_load_dwordx2 v[0:1], v[2:3], off
	s_mov_b64 s[8:9], 0
	s_waitcnt vmcnt(0)
	v_cvt_f32_f64_e32 v1, v[0:1]
	s_branch .LBB17_944
.LBB17_942:
	s_mov_b64 s[8:9], -1
                                        ; implicit-def: $vgpr1
	s_branch .LBB17_947
.LBB17_943:
	s_mov_b64 s[8:9], -1
                                        ; implicit-def: $vgpr1
.LBB17_944:
	s_andn2_b64 vcc, exec, s[8:9]
	s_cbranch_vccnz .LBB17_946
; %bb.945:
	global_load_dword v1, v[2:3], off
.LBB17_946:
	s_mov_b64 s[8:9], 0
.LBB17_947:
	s_andn2_b64 vcc, exec, s[8:9]
	s_cbranch_vccnz .LBB17_949
; %bb.948:
	global_load_ushort v0, v[2:3], off
	s_waitcnt vmcnt(0)
	v_cvt_f32_f16_e32 v1, v0
.LBB17_949:
	s_cbranch_execnz .LBB17_968
.LBB17_950:
	v_cmp_gt_i16_e32 vcc, 2, v44
	s_cbranch_vccnz .LBB17_954
; %bb.951:
	v_cmp_gt_i16_e32 vcc, 3, v44
	s_cbranch_vccnz .LBB17_955
; %bb.952:
	v_cmp_lt_i16_e32 vcc, 3, v44
	s_cbranch_vccz .LBB17_956
; %bb.953:
	global_load_dwordx2 v[0:1], v[2:3], off
	s_mov_b64 s[8:9], 0
	s_waitcnt vmcnt(0)
	v_xor_b32_e32 v5, v0, v1
	v_ffbh_i32_e32 v4, v1
	v_ashrrev_i32_e32 v5, 31, v5
	v_add_u32_e32 v4, -1, v4
	v_add_u32_e32 v5, 32, v5
	v_min_u32_e32 v4, v4, v5
	v_lshlrev_b64 v[0:1], v4, v[0:1]
	v_min_u32_e32 v0, 1, v0
	v_or_b32_e32 v0, v1, v0
	v_cvt_f32_i32_e32 v0, v0
	v_sub_u32_e32 v1, 32, v4
	v_ldexp_f32 v1, v0, v1
	s_branch .LBB17_957
.LBB17_954:
                                        ; implicit-def: $vgpr1
	s_branch .LBB17_963
.LBB17_955:
	s_mov_b64 s[8:9], -1
                                        ; implicit-def: $vgpr1
	s_branch .LBB17_960
.LBB17_956:
	s_mov_b64 s[8:9], -1
                                        ; implicit-def: $vgpr1
.LBB17_957:
	s_andn2_b64 vcc, exec, s[8:9]
	s_cbranch_vccnz .LBB17_959
; %bb.958:
	global_load_dword v0, v[2:3], off
	s_waitcnt vmcnt(0)
	v_cvt_f32_i32_e32 v1, v0
.LBB17_959:
	s_mov_b64 s[8:9], 0
.LBB17_960:
	s_andn2_b64 vcc, exec, s[8:9]
	s_cbranch_vccnz .LBB17_962
; %bb.961:
	global_load_sshort v0, v[2:3], off
	s_waitcnt vmcnt(0)
	v_cvt_f32_i32_e32 v1, v0
.LBB17_962:
	s_cbranch_execnz .LBB17_968
.LBB17_963:
	v_cmp_lt_i16_e32 vcc, 0, v44
	s_cbranch_vccz .LBB17_965
; %bb.964:
	global_load_sbyte v0, v[2:3], off
	s_mov_b64 s[8:9], 0
	s_waitcnt vmcnt(0)
	v_cvt_f32_i32_e32 v1, v0
	s_branch .LBB17_966
.LBB17_965:
	s_mov_b64 s[8:9], -1
                                        ; implicit-def: $vgpr1
.LBB17_966:
	s_andn2_b64 vcc, exec, s[8:9]
	s_cbranch_vccnz .LBB17_968
; %bb.967:
	global_load_ubyte v0, v[2:3], off
	s_waitcnt vmcnt(0)
	v_cvt_f32_ubyte0_e32 v1, v0
.LBB17_968:
	s_or_b64 s[4:5], s[4:5], exec
.LBB17_969:
	s_or_b64 exec, exec, s[6:7]
	s_mov_b64 s[8:9], 0
	s_mov_b64 s[6:7], 0
                                        ; implicit-def: $vgpr4
                                        ; implicit-def: $vgpr2_vgpr3
                                        ; implicit-def: $vgpr0
	s_and_saveexec_b64 s[44:45], s[4:5]
	s_cbranch_execz .LBB17_987
; %bb.970:
	s_waitcnt vmcnt(0)
	v_mov_b32_e32 v0, v1
	s_getpc_b64 s[4:5]
	s_add_u32 s4, s4, _Z17bessel_j1_forwardIfET_S0_@rel32@lo+4
	s_addc_u32 s5, s5, _Z17bessel_j1_forwardIfET_S0_@rel32@hi+12
	s_swappc_b64 s[30:31], s[4:5]
	v_mov_b32_e32 v1, s41
	v_add_co_u32_e32 v2, vcc, s40, v42
	v_addc_co_u32_e32 v3, vcc, 0, v1, vcc
	v_and_b32_e32 v4, 0xff, v41
	v_cmp_gt_i16_e32 vcc, 11, v4
	s_cbranch_vccnz .LBB17_990
; %bb.971:
	v_cmp_lt_i16_e32 vcc, 25, v4
	s_mov_b64 s[8:9], -1
	s_mov_b64 s[4:5], s[66:67]
	s_cbranch_vccz .LBB17_1008
; %bb.972:
	v_cmp_lt_i16_e32 vcc, 28, v4
	s_mov_b64 s[6:7], -1
	s_mov_b64 s[4:5], s[66:67]
	s_cbranch_vccz .LBB17_992
; %bb.973:
	v_cmp_lt_i16_e32 vcc, 43, v4
	s_mov_b64 s[4:5], s[66:67]
	s_cbranch_vccz .LBB17_984
; %bb.974:
	v_cmp_lt_i16_e32 vcc, 45, v4
	s_mov_b64 s[4:5], s[66:67]
	s_cbranch_vccz .LBB17_978
; %bb.975:
	v_cmp_eq_u16_e32 vcc, 46, v4
	s_mov_b64 s[4:5], -1
	s_cbranch_vccz .LBB17_977
; %bb.976:
	v_bfe_u32 v1, v0, 16, 1
	s_movk_i32 s4, 0x7fff
	v_add3_u32 v1, v0, v1, s4
	v_lshrrev_b32_e32 v1, 16, v1
	v_mov_b32_e32 v5, 0x7fc0
	v_cmp_o_f32_e32 vcc, v0, v0
	v_cndmask_b32_e32 v1, v5, v1, vcc
	global_store_dword v[2:3], v1, off
	s_mov_b64 s[4:5], 0
.LBB17_977:
	s_mov_b64 s[6:7], 0
.LBB17_978:
	s_and_b64 vcc, exec, s[6:7]
	s_cbranch_vccz .LBB17_983
; %bb.979:
	v_cmp_eq_u16_e32 vcc, 44, v4
	s_mov_b64 s[4:5], -1
	s_cbranch_vccz .LBB17_983
; %bb.980:
	v_bfe_u32 v1, v0, 23, 8
	s_movk_i32 s4, 0xff
	v_cmp_ne_u32_e32 vcc, s4, v1
	v_mov_b32_e32 v5, 0xff
	s_and_saveexec_b64 s[6:7], vcc
; %bb.981:
	s_mov_b32 s4, 0x3fffff
	v_and_b32_e32 v6, 0x400000, v0
	v_and_or_b32 v1, v0, s4, v1
	v_cmp_ne_u32_e32 vcc, 0, v6
	v_cmp_ne_u32_e64 s[4:5], 0, v1
	s_and_b64 s[4:5], vcc, s[4:5]
	v_lshrrev_b32_e32 v5, 23, v0
	v_cndmask_b32_e64 v1, 0, 1, s[4:5]
	v_add_u32_e32 v5, v5, v1
; %bb.982:
	s_or_b64 exec, exec, s[6:7]
	s_mov_b64 s[4:5], 0
	global_store_byte v[2:3], v5, off
.LBB17_983:
	s_mov_b64 s[6:7], 0
.LBB17_984:
	s_and_b64 vcc, exec, s[6:7]
	s_cbranch_vccz .LBB17_991
; %bb.985:
	v_cmp_eq_u16_e32 vcc, 29, v4
	s_mov_b64 s[4:5], -1
	s_cbranch_vccz .LBB17_991
; %bb.986:
	v_trunc_f32_e32 v1, v0
	v_mul_f32_e32 v5, 0x2f800000, v1
	v_floor_f32_e32 v5, v5
	v_fmac_f32_e32 v1, 0xcf800000, v5
	v_cvt_u32_f32_e32 v7, v5
	v_cvt_u32_f32_e32 v6, v1
	s_mov_b64 s[4:5], 0
	s_mov_b64 s[6:7], 0
	global_store_dwordx2 v[2:3], v[6:7], off
	s_branch .LBB17_992
.LBB17_987:
	s_or_b64 exec, exec, s[44:45]
	s_and_saveexec_b64 s[4:5], s[66:67]
	s_cbranch_execnz .LBB17_1050
.LBB17_988:
	s_or_b64 exec, exec, s[4:5]
	s_and_saveexec_b64 s[4:5], s[8:9]
	s_xor_b64 s[4:5], exec, s[4:5]
	s_cbranch_execz .LBB17_1051
.LBB17_989:
	s_waitcnt vmcnt(0)
	v_cmp_neq_f32_e32 vcc, 0, v0
	v_cndmask_b32_e64 v1, 0, 1, vcc
	global_store_byte v[2:3], v1, off
	s_or_b64 exec, exec, s[4:5]
	s_and_saveexec_b64 s[4:5], s[6:7]
	s_xor_b64 s[4:5], exec, s[4:5]
	s_cbranch_execz .LBB17_1089
	s_branch .LBB17_1052
.LBB17_990:
	s_mov_b64 s[8:9], 0
	s_mov_b64 s[6:7], -1
	s_mov_b64 s[4:5], s[66:67]
	s_branch .LBB17_1049
.LBB17_991:
	s_mov_b64 s[6:7], 0
.LBB17_992:
	s_and_b64 vcc, exec, s[6:7]
	s_cbranch_vccz .LBB17_1007
; %bb.993:
	v_cmp_gt_i16_e32 vcc, 27, v4
	s_mov_b64 s[6:7], -1
	s_cbranch_vccnz .LBB17_999
; %bb.994:
	v_cmp_lt_i16_e32 vcc, 27, v4
	s_cbranch_vccz .LBB17_996
; %bb.995:
	v_cvt_u32_f32_e32 v1, v0
	s_mov_b64 s[6:7], 0
	global_store_dword v[2:3], v1, off
.LBB17_996:
	s_andn2_b64 vcc, exec, s[6:7]
	s_cbranch_vccnz .LBB17_998
; %bb.997:
	v_cvt_u32_f32_e32 v1, v0
	global_store_short v[2:3], v1, off
.LBB17_998:
	s_mov_b64 s[6:7], 0
.LBB17_999:
	s_andn2_b64 vcc, exec, s[6:7]
	s_cbranch_vccnz .LBB17_1007
; %bb.1000:
	v_and_b32_e32 v1, 0x7fffffff, v0
	s_mov_b32 s6, 0x43800000
	v_cmp_gt_u32_e32 vcc, s6, v1
	v_mov_b32_e32 v5, 0x80
	s_and_saveexec_b64 s[6:7], vcc
	s_cbranch_execz .LBB17_1006
; %bb.1001:
	s_mov_b32 s8, 0x3bffffff
	v_cmp_lt_u32_e32 vcc, s8, v1
	s_mov_b64 s[8:9], 0
                                        ; implicit-def: $vgpr1
	s_and_saveexec_b64 s[10:11], vcc
	s_xor_b64 s[10:11], exec, s[10:11]
	s_cbranch_execz .LBB17_1160
; %bb.1002:
	v_bfe_u32 v1, v0, 20, 1
	s_mov_b32 s12, 0x487ffff
	v_add3_u32 v1, v0, v1, s12
	s_mov_b64 s[8:9], exec
	v_lshrrev_b32_e32 v1, 20, v1
	s_or_saveexec_b64 s[10:11], s[10:11]
                                        ; implicit-def: $sgpr12
	s_xor_b64 exec, exec, s[10:11]
	s_cbranch_execnz .LBB17_1161
.LBB17_1003:
	s_or_b64 exec, exec, s[10:11]
	v_mov_b32_e32 v5, s12
	s_and_saveexec_b64 s[10:11], s[8:9]
.LBB17_1004:
	v_lshrrev_b32_e32 v5, 24, v0
	s_movk_i32 s8, 0x80
	v_and_or_b32 v5, v5, s8, v1
.LBB17_1005:
	s_or_b64 exec, exec, s[10:11]
.LBB17_1006:
	s_or_b64 exec, exec, s[6:7]
	global_store_byte v[2:3], v5, off
.LBB17_1007:
	s_mov_b64 s[8:9], 0
.LBB17_1008:
	s_mov_b64 s[6:7], 0
	s_and_b64 vcc, exec, s[8:9]
	s_cbranch_vccz .LBB17_1048
; %bb.1009:
	v_cmp_lt_i16_e32 vcc, 22, v4
	s_mov_b64 s[8:9], -1
	s_cbranch_vccz .LBB17_1041
; %bb.1010:
	v_cmp_gt_i16_e32 vcc, 24, v4
	s_cbranch_vccnz .LBB17_1030
; %bb.1011:
	v_cmp_lt_i16_e32 vcc, 24, v4
	s_cbranch_vccz .LBB17_1019
; %bb.1012:
	v_and_b32_e32 v1, 0x7fffffff, v0
	s_mov_b32 s8, 0x47800000
	v_cmp_gt_u32_e32 vcc, s8, v1
	v_mov_b32_e32 v5, 0x80
	s_and_saveexec_b64 s[8:9], vcc
	s_cbranch_execz .LBB17_1018
; %bb.1013:
	s_mov_b32 s10, 0x37ffffff
	v_cmp_lt_u32_e32 vcc, s10, v1
	s_mov_b64 s[10:11], 0
                                        ; implicit-def: $vgpr1
	s_and_saveexec_b64 s[12:13], vcc
	s_xor_b64 s[12:13], exec, s[12:13]
	s_cbranch_execz .LBB17_1285
; %bb.1014:
	v_bfe_u32 v1, v0, 21, 1
	s_mov_b32 s14, 0x88fffff
	v_add3_u32 v1, v0, v1, s14
	s_mov_b64 s[10:11], exec
	v_lshrrev_b32_e32 v1, 21, v1
	s_or_saveexec_b64 s[12:13], s[12:13]
                                        ; implicit-def: $sgpr14
	s_xor_b64 exec, exec, s[12:13]
	s_cbranch_execnz .LBB17_1286
.LBB17_1015:
	s_or_b64 exec, exec, s[12:13]
	v_mov_b32_e32 v5, s14
	s_and_saveexec_b64 s[12:13], s[10:11]
.LBB17_1016:
	v_lshrrev_b32_e32 v5, 24, v0
	s_movk_i32 s10, 0x80
	v_and_or_b32 v5, v5, s10, v1
.LBB17_1017:
	s_or_b64 exec, exec, s[12:13]
.LBB17_1018:
	s_or_b64 exec, exec, s[8:9]
	s_mov_b64 s[8:9], 0
	global_store_byte v[2:3], v5, off
.LBB17_1019:
	s_and_b64 vcc, exec, s[8:9]
	s_cbranch_vccz .LBB17_1029
; %bb.1020:
	v_and_b32_e32 v5, 0x7fffffff, v0
	s_mov_b32 s8, 0x43f00000
	v_cmp_gt_u32_e32 vcc, s8, v5
                                        ; implicit-def: $vgpr1
	s_and_saveexec_b64 s[8:9], vcc
	s_xor_b64 s[8:9], exec, s[8:9]
	s_cbranch_execz .LBB17_1026
; %bb.1021:
	s_mov_b32 s10, 0x3c7fffff
	v_cmp_lt_u32_e32 vcc, s10, v5
                                        ; implicit-def: $vgpr1
	s_and_saveexec_b64 s[10:11], vcc
	s_xor_b64 s[10:11], exec, s[10:11]
; %bb.1022:
	v_bfe_u32 v1, v0, 20, 1
	s_mov_b32 s12, 0x407ffff
	v_add3_u32 v1, v0, v1, s12
	v_lshrrev_b32_e32 v5, 20, v1
	v_and_b32_e32 v1, 0xff00000, v1
	s_mov_b32 s12, 0x7f00000
	v_mov_b32_e32 v6, 0x7e
	v_cmp_ne_u32_e32 vcc, s12, v1
	v_cndmask_b32_e32 v1, v6, v5, vcc
; %bb.1023:
	s_andn2_saveexec_b64 s[10:11], s[10:11]
; %bb.1024:
	s_mov_b32 s12, 0x46800000
	v_add_f32_e64 v1, |v0|, s12
; %bb.1025:
	s_or_b64 exec, exec, s[10:11]
                                        ; implicit-def: $vgpr5
.LBB17_1026:
	s_andn2_saveexec_b64 s[8:9], s[8:9]
; %bb.1027:
	s_mov_b32 s10, 0x7f800000
	v_mov_b32_e32 v1, 0x7e
	v_mov_b32_e32 v6, 0x7f
	v_cmp_lt_u32_e32 vcc, s10, v5
	v_cndmask_b32_e32 v1, v1, v6, vcc
; %bb.1028:
	s_or_b64 exec, exec, s[8:9]
	v_lshrrev_b32_e32 v5, 24, v0
	s_movk_i32 s8, 0x80
	v_and_or_b32 v1, v5, s8, v1
	global_store_byte v[2:3], v1, off
.LBB17_1029:
	s_mov_b64 s[8:9], 0
.LBB17_1030:
	s_andn2_b64 vcc, exec, s[8:9]
	s_cbranch_vccnz .LBB17_1040
; %bb.1031:
	v_and_b32_e32 v5, 0x7fffffff, v0
	s_mov_b32 s8, 0x47800000
	v_cmp_gt_u32_e32 vcc, s8, v5
                                        ; implicit-def: $vgpr1
	s_and_saveexec_b64 s[8:9], vcc
	s_xor_b64 s[8:9], exec, s[8:9]
	s_cbranch_execz .LBB17_1037
; %bb.1032:
	s_mov_b32 s10, 0x387fffff
	v_cmp_lt_u32_e32 vcc, s10, v5
                                        ; implicit-def: $vgpr1
	s_and_saveexec_b64 s[10:11], vcc
	s_xor_b64 s[10:11], exec, s[10:11]
; %bb.1033:
	v_bfe_u32 v1, v0, 21, 1
	s_mov_b32 s12, 0x80fffff
	v_add3_u32 v1, v0, v1, s12
	v_lshrrev_b32_e32 v1, 21, v1
; %bb.1034:
	s_andn2_saveexec_b64 s[10:11], s[10:11]
; %bb.1035:
	s_mov_b32 s12, 0x43000000
	v_add_f32_e64 v1, |v0|, s12
; %bb.1036:
	s_or_b64 exec, exec, s[10:11]
                                        ; implicit-def: $vgpr5
.LBB17_1037:
	s_andn2_saveexec_b64 s[8:9], s[8:9]
; %bb.1038:
	s_mov_b32 s10, 0x7f800000
	v_mov_b32_e32 v1, 0x7c
	v_mov_b32_e32 v6, 0x7f
	v_cmp_lt_u32_e32 vcc, s10, v5
	v_cndmask_b32_e32 v1, v1, v6, vcc
; %bb.1039:
	s_or_b64 exec, exec, s[8:9]
	v_lshrrev_b32_e32 v5, 24, v0
	s_movk_i32 s8, 0x80
	v_and_or_b32 v1, v5, s8, v1
	global_store_byte v[2:3], v1, off
.LBB17_1040:
	s_mov_b64 s[8:9], 0
.LBB17_1041:
	s_andn2_b64 vcc, exec, s[8:9]
	s_mov_b64 s[8:9], 0
	s_cbranch_vccnz .LBB17_1049
; %bb.1042:
	v_cmp_lt_i16_e32 vcc, 14, v4
	s_mov_b64 s[10:11], -1
	s_cbranch_vccz .LBB17_1046
; %bb.1043:
	v_cmp_eq_u16_e32 vcc, 15, v4
	s_mov_b64 s[4:5], -1
	s_cbranch_vccz .LBB17_1045
; %bb.1044:
	v_bfe_u32 v1, v0, 16, 1
	s_movk_i32 s4, 0x7fff
	v_add3_u32 v1, v0, v1, s4
	v_lshrrev_b32_e32 v1, 16, v1
	v_mov_b32_e32 v5, 0x7fc0
	v_cmp_o_f32_e32 vcc, v0, v0
	v_cndmask_b32_e32 v1, v5, v1, vcc
	global_store_short v[2:3], v1, off
	s_mov_b64 s[4:5], 0
.LBB17_1045:
	s_mov_b64 s[10:11], 0
.LBB17_1046:
	s_and_b64 vcc, exec, s[10:11]
	s_cbranch_vccz .LBB17_1049
; %bb.1047:
	v_cmp_ne_u16_e32 vcc, 11, v4
	s_andn2_b64 s[4:5], s[4:5], exec
	s_and_b64 s[10:11], vcc, exec
	s_mov_b64 s[8:9], -1
	s_or_b64 s[4:5], s[4:5], s[10:11]
	s_branch .LBB17_1049
.LBB17_1048:
	s_mov_b64 s[8:9], 0
.LBB17_1049:
	s_andn2_b64 s[10:11], s[66:67], exec
	s_and_b64 s[4:5], s[4:5], exec
	s_and_b64 s[6:7], s[6:7], exec
	;; [unrolled: 1-line block ×3, first 2 shown]
	s_or_b64 s[66:67], s[10:11], s[4:5]
	s_or_b64 exec, exec, s[44:45]
	s_and_saveexec_b64 s[4:5], s[66:67]
	s_cbranch_execz .LBB17_988
.LBB17_1050:
	s_or_b64 s[42:43], s[42:43], exec
	s_andn2_b64 s[8:9], s[8:9], exec
	s_trap 2
	s_or_b64 exec, exec, s[4:5]
	s_and_saveexec_b64 s[4:5], s[8:9]
	s_xor_b64 s[4:5], exec, s[4:5]
	s_cbranch_execnz .LBB17_989
.LBB17_1051:
	s_or_b64 exec, exec, s[4:5]
	s_and_saveexec_b64 s[4:5], s[6:7]
	s_xor_b64 s[4:5], exec, s[4:5]
	s_cbranch_execz .LBB17_1089
.LBB17_1052:
	v_cmp_gt_i16_e32 vcc, 5, v4
	s_mov_b64 s[6:7], -1
	s_cbranch_vccnz .LBB17_1073
; %bb.1053:
	v_cmp_gt_i16_e32 vcc, 8, v4
	s_cbranch_vccnz .LBB17_1063
; %bb.1054:
	v_cmp_gt_i16_e32 vcc, 9, v4
	s_cbranch_vccnz .LBB17_1060
; %bb.1055:
	v_cmp_lt_i16_e32 vcc, 9, v4
	s_cbranch_vccz .LBB17_1057
; %bb.1056:
	v_mov_b32_e32 v8, 0
	s_waitcnt vmcnt(0)
	v_cvt_f64_f32_e32 v[6:7], v0
	v_mov_b32_e32 v9, v8
	s_mov_b64 s[6:7], 0
	global_store_dwordx4 v[2:3], v[6:9], off
.LBB17_1057:
	s_andn2_b64 vcc, exec, s[6:7]
	s_cbranch_vccnz .LBB17_1059
; %bb.1058:
	s_waitcnt vmcnt(0)
	v_mov_b32_e32 v1, 0
	global_store_dwordx2 v[2:3], v[0:1], off
.LBB17_1059:
	s_mov_b64 s[6:7], 0
.LBB17_1060:
	s_andn2_b64 vcc, exec, s[6:7]
	s_cbranch_vccnz .LBB17_1062
; %bb.1061:
	s_waitcnt vmcnt(0)
	v_cvt_f16_f32_e32 v1, v0
	global_store_dword v[2:3], v1, off
.LBB17_1062:
	s_mov_b64 s[6:7], 0
.LBB17_1063:
	s_andn2_b64 vcc, exec, s[6:7]
	s_cbranch_vccnz .LBB17_1072
; %bb.1064:
	v_cmp_gt_i16_e32 vcc, 6, v4
	s_mov_b64 s[6:7], -1
	s_cbranch_vccnz .LBB17_1070
; %bb.1065:
	v_cmp_lt_i16_e32 vcc, 6, v4
	s_cbranch_vccz .LBB17_1067
; %bb.1066:
	s_waitcnt vmcnt(0)
	v_cvt_f64_f32_e32 v[6:7], v0
	s_mov_b64 s[6:7], 0
	global_store_dwordx2 v[2:3], v[6:7], off
.LBB17_1067:
	s_andn2_b64 vcc, exec, s[6:7]
	s_cbranch_vccnz .LBB17_1069
; %bb.1068:
	s_waitcnt vmcnt(0)
	global_store_dword v[2:3], v0, off
.LBB17_1069:
	s_mov_b64 s[6:7], 0
.LBB17_1070:
	s_andn2_b64 vcc, exec, s[6:7]
	s_cbranch_vccnz .LBB17_1072
; %bb.1071:
	s_waitcnt vmcnt(0)
	v_cvt_f16_f32_e32 v1, v0
	global_store_short v[2:3], v1, off
.LBB17_1072:
	s_mov_b64 s[6:7], 0
.LBB17_1073:
	s_andn2_b64 vcc, exec, s[6:7]
	s_cbranch_vccnz .LBB17_1089
; %bb.1074:
	v_cmp_gt_i16_e32 vcc, 2, v4
	s_mov_b64 s[6:7], -1
	s_cbranch_vccnz .LBB17_1084
; %bb.1075:
	v_cmp_gt_i16_e32 vcc, 3, v4
	s_cbranch_vccnz .LBB17_1081
; %bb.1076:
	v_cmp_lt_i16_e32 vcc, 3, v4
	s_cbranch_vccz .LBB17_1078
; %bb.1077:
	s_waitcnt vmcnt(0)
	v_trunc_f32_e32 v1, v0
	s_mov_b32 s6, 0x2f800000
	v_mul_f32_e64 v5, |v1|, s6
	v_floor_f32_e32 v5, v5
	s_mov_b32 s6, 0xcf800000
	v_cvt_u32_f32_e32 v6, v5
	v_fma_f32 v5, v5, s6, |v1|
	v_cvt_u32_f32_e32 v5, v5
	v_ashrrev_i32_e32 v1, 31, v1
	v_xor_b32_e32 v7, v6, v1
	s_mov_b64 s[6:7], 0
	v_xor_b32_e32 v5, v5, v1
	v_sub_co_u32_e32 v6, vcc, v5, v1
	v_subb_co_u32_e32 v7, vcc, v7, v1, vcc
	global_store_dwordx2 v[2:3], v[6:7], off
.LBB17_1078:
	s_andn2_b64 vcc, exec, s[6:7]
	s_cbranch_vccnz .LBB17_1080
; %bb.1079:
	s_waitcnt vmcnt(0)
	v_cvt_i32_f32_e32 v1, v0
	global_store_dword v[2:3], v1, off
.LBB17_1080:
	s_mov_b64 s[6:7], 0
.LBB17_1081:
	s_andn2_b64 vcc, exec, s[6:7]
	s_cbranch_vccnz .LBB17_1083
; %bb.1082:
	s_waitcnt vmcnt(0)
	v_cvt_i32_f32_e32 v1, v0
	global_store_short v[2:3], v1, off
.LBB17_1083:
	s_mov_b64 s[6:7], 0
.LBB17_1084:
	s_andn2_b64 vcc, exec, s[6:7]
	s_cbranch_vccnz .LBB17_1089
; %bb.1085:
	v_cmp_lt_i16_e32 vcc, 0, v4
	s_mov_b64 s[6:7], -1
	s_cbranch_vccz .LBB17_1087
; %bb.1086:
	s_waitcnt vmcnt(0)
	v_cvt_i32_f32_e32 v1, v0
	s_mov_b64 s[6:7], 0
	global_store_byte v[2:3], v1, off
.LBB17_1087:
	s_andn2_b64 vcc, exec, s[6:7]
	s_cbranch_vccnz .LBB17_1089
; %bb.1088:
	s_waitcnt vmcnt(0)
	v_trunc_f32_e32 v0, v0
	s_mov_b32 s6, 0x2f800000
	v_mul_f32_e64 v1, |v0|, s6
	v_floor_f32_e32 v1, v1
	s_mov_b32 s6, 0xcf800000
	v_fma_f32 v1, v1, s6, |v0|
	v_cvt_u32_f32_e32 v1, v1
	v_ashrrev_i32_e32 v0, 31, v0
	v_xor_b32_e32 v1, v1, v0
	v_sub_u32_e32 v0, v1, v0
	global_store_byte v[2:3], v0, off
.LBB17_1089:
	s_or_b64 exec, exec, s[4:5]
	s_and_b64 s[44:45], s[42:43], exec
                                        ; implicit-def: $vgpr8
                                        ; implicit-def: $vgpr45
.LBB17_1090:
	s_or_saveexec_b64 s[46:47], s[56:57]
	s_mov_b64 s[4:5], 0
                                        ; implicit-def: $vgpr2_vgpr3
                                        ; implicit-def: $vgpr4
                                        ; implicit-def: $vgpr0
	s_xor_b64 exec, exec, s[46:47]
	s_cbranch_execz .LBB17_2114
; %bb.1091:
	s_waitcnt vmcnt(0)
	v_cndmask_b32_e64 v0, 0, 1, s[54:55]
	v_cmp_ne_u32_e64 s[4:5], 1, v0
	s_andn2_b64 vcc, exec, s[54:55]
	s_cbranch_vccnz .LBB17_1098
; %bb.1092:
	s_mov_b32 s6, 0
	s_cmp_lg_u32 s82, 0
	v_mov_b32_e32 v0, 0
	v_mov_b32_e32 v58, 0
	s_cbranch_scc0 .LBB17_1097
; %bb.1093:
	s_min_u32 s33, s83, 15
	s_add_i32 s33, s33, 1
	s_cmp_eq_u32 s83, 2
	s_cbranch_scc1 .LBB17_1099
; %bb.1094:
	s_add_u32 s28, s38, 0xc4
	s_addc_u32 s29, s39, 0
	s_and_b32 s6, s33, 28
	s_mov_b32 s7, 0
	v_mov_b32_e32 v58, 0
	s_mov_b64 s[30:31], s[38:39]
	v_mov_b32_e32 v1, v45
	v_mov_b32_e32 v0, 0
.LBB17_1095:                            ; =>This Inner Loop Header: Depth=1
	s_load_dwordx8 s[16:23], s[30:31], 0x4
	s_load_dwordx4 s[24:27], s[30:31], 0x24
	s_load_dwordx8 s[8:15], s[28:29], 0x0
	s_add_u32 s30, s30, 48
	s_addc_u32 s31, s31, 0
	s_waitcnt lgkmcnt(0)
	v_mul_hi_u32 v2, s17, v1
	v_add_u32_e32 v2, v1, v2
	v_lshrrev_b32_e32 v2, s18, v2
	v_mul_lo_u32 v3, v2, s16
	v_mul_hi_u32 v4, s20, v2
	v_sub_u32_e32 v1, v1, v3
	v_add_u32_e32 v3, v2, v4
	v_lshrrev_b32_e32 v3, s21, v3
	v_mul_lo_u32 v5, v3, s19
	v_mul_hi_u32 v6, s23, v3
	v_sub_u32_e32 v2, v2, v5
	v_add_u32_e32 v5, v3, v6
	v_mul_lo_u32 v4, v1, s9
	v_mul_lo_u32 v1, v1, s8
	;; [unrolled: 1-line block ×4, first 2 shown]
	v_lshrrev_b32_e32 v5, s24, v5
	v_add3_u32 v2, v1, v58, v2
	v_add3_u32 v0, v4, v0, v6
	v_mul_lo_u32 v1, v5, s22
	v_mul_hi_u32 v4, s26, v5
	v_sub_u32_e32 v1, v3, v1
	v_add_u32_e32 v3, v5, v4
	v_mul_lo_u32 v4, v1, s12
	v_mul_lo_u32 v6, v1, s13
	v_lshrrev_b32_e32 v1, s27, v3
	s_add_i32 s7, s7, 4
	v_mul_lo_u32 v3, v1, s25
	s_add_u32 s28, s28, 32
	v_sub_u32_e32 v3, v5, v3
	s_addc_u32 s29, s29, 0
	v_mul_lo_u32 v5, v3, s14
	v_mul_lo_u32 v3, v3, s15
	s_cmp_lg_u32 s6, s7
	v_add3_u32 v0, v6, v0, v3
	v_add3_u32 v58, v4, v2, v5
	s_cbranch_scc1 .LBB17_1095
; %bb.1096:
	v_mov_b32_e32 v59, v0
	s_and_b32 s10, s33, 3
	s_cmp_eq_u32 s10, 0
	s_cbranch_scc0 .LBB17_1100
.LBB17_1097:
	s_cbranch_execz .LBB17_1103
	s_branch .LBB17_1105
.LBB17_1098:
                                        ; implicit-def: $vgpr0
                                        ; implicit-def: $vgpr58
	s_branch .LBB17_1103
.LBB17_1099:
	s_mov_b32 s7, s6
	v_pk_mov_b32 v[58:59], s[6:7], s[6:7] op_sel:[0,1]
                                        ; implicit-def: $vgpr0
	v_mov_b32_e32 v1, v45
	s_and_b32 s10, s33, 3
	s_cmp_eq_u32 s10, 0
	s_cbranch_scc1 .LBB17_1097
.LBB17_1100:
	s_lshl_b32 s7, s6, 3
	s_add_u32 s7, s7, s38
	s_addc_u32 s9, 0, s39
	s_add_u32 s8, s7, 0xc4
	s_addc_u32 s9, s9, 0
	s_mul_i32 s6, s6, 12
	s_add_u32 s6, s38, s6
	s_addc_u32 s7, 0, s39
.LBB17_1101:                            ; =>This Inner Loop Header: Depth=1
	s_load_dwordx2 s[12:13], s[6:7], 0x4
	s_load_dword s11, s[6:7], 0xc
	s_load_dwordx2 s[14:15], s[8:9], 0x0
	s_add_u32 s6, s6, 12
	s_addc_u32 s7, s7, 0
	s_waitcnt lgkmcnt(0)
	v_mul_hi_u32 v2, s13, v1
	v_add_u32_e32 v2, v1, v2
	v_lshrrev_b32_e32 v2, s11, v2
	v_mul_lo_u32 v3, v2, s12
	v_mov_b32_e32 v0, v59
	s_add_u32 s8, s8, 8
	v_sub_u32_e32 v4, v1, v3
	v_mov_b32_e32 v1, v2
	s_addc_u32 s9, s9, 0
	s_add_i32 s10, s10, -1
	v_mad_u64_u32 v[2:3], s[12:13], v4, s15, v[0:1]
	v_mad_u64_u32 v[58:59], s[12:13], v4, s14, v[58:59]
	s_cmp_lg_u32 s10, 0
	v_mov_b32_e32 v59, v2
	s_cbranch_scc1 .LBB17_1101
; %bb.1102:
	v_mov_b32_e32 v0, v59
	s_cbranch_execnz .LBB17_1105
.LBB17_1103:
	s_load_dwordx4 s[8:11], s[38:39], 0x4
	s_load_dwordx2 s[6:7], s[38:39], 0xc4
	s_cmp_lt_u32 s82, 2
	s_waitcnt lgkmcnt(0)
	v_mul_hi_u32 v0, s9, v45
	v_add_u32_e32 v0, v45, v0
	v_lshrrev_b32_e32 v1, s10, v0
	v_mul_lo_u32 v0, v1, s8
	v_sub_u32_e32 v2, v45, v0
	v_mul_lo_u32 v0, v2, s7
	v_mul_lo_u32 v58, v2, s6
	s_cbranch_scc1 .LBB17_1105
; %bb.1104:
	s_load_dwordx4 s[8:11], s[38:39], 0x10
	s_load_dwordx2 s[6:7], s[38:39], 0xcc
	s_waitcnt lgkmcnt(0)
	v_mul_hi_u32 v2, s9, v1
	v_add_u32_e32 v2, v1, v2
	v_lshrrev_b32_e32 v2, s10, v2
	v_mul_lo_u32 v2, v2, s8
	v_sub_u32_e32 v1, v1, v2
	v_mad_u64_u32 v[58:59], s[8:9], v1, s6, v[58:59]
	v_mad_u64_u32 v[0:1], s[6:7], v1, s7, v[0:1]
.LBB17_1105:
	s_and_b64 vcc, exec, s[4:5]
	v_add_u32_e32 v1, 0x80, v45
	s_cbranch_vccnz .LBB17_1112
; %bb.1106:
	s_mov_b32 s6, 0
	s_cmp_lg_u32 s82, 0
	v_mov_b32_e32 v6, 0
	v_mov_b32_e32 v56, 0
	s_cbranch_scc0 .LBB17_1111
; %bb.1107:
	s_min_u32 s33, s83, 15
	s_add_i32 s33, s33, 1
	s_cmp_eq_u32 s83, 2
	s_cbranch_scc1 .LBB17_1113
; %bb.1108:
	s_add_u32 s28, s38, 0xc4
	s_addc_u32 s29, s39, 0
	s_and_b32 s6, s33, 28
	s_mov_b32 s7, 0
	v_mov_b32_e32 v56, 0
	s_mov_b64 s[30:31], s[38:39]
	v_mov_b32_e32 v2, v1
	v_mov_b32_e32 v6, 0
.LBB17_1109:                            ; =>This Inner Loop Header: Depth=1
	s_load_dwordx8 s[16:23], s[30:31], 0x4
	s_load_dwordx4 s[24:27], s[30:31], 0x24
	s_load_dwordx8 s[8:15], s[28:29], 0x0
	s_add_u32 s30, s30, 48
	s_addc_u32 s31, s31, 0
	s_waitcnt lgkmcnt(0)
	v_mul_hi_u32 v3, s17, v2
	v_add_u32_e32 v3, v2, v3
	v_lshrrev_b32_e32 v3, s18, v3
	v_mul_lo_u32 v4, v3, s16
	v_mul_hi_u32 v5, s20, v3
	v_sub_u32_e32 v2, v2, v4
	v_add_u32_e32 v4, v3, v5
	v_lshrrev_b32_e32 v4, s21, v4
	v_mul_lo_u32 v7, v4, s19
	v_mul_hi_u32 v9, s23, v4
	v_sub_u32_e32 v3, v3, v7
	v_add_u32_e32 v7, v4, v9
	v_mul_lo_u32 v5, v2, s9
	v_mul_lo_u32 v2, v2, s8
	;; [unrolled: 1-line block ×4, first 2 shown]
	v_lshrrev_b32_e32 v7, s24, v7
	v_add3_u32 v3, v2, v56, v3
	v_add3_u32 v5, v5, v6, v9
	v_mul_lo_u32 v2, v7, s22
	v_mul_hi_u32 v6, s26, v7
	v_sub_u32_e32 v2, v4, v2
	v_add_u32_e32 v4, v7, v6
	v_mul_lo_u32 v9, v2, s12
	v_mul_lo_u32 v6, v2, s13
	v_lshrrev_b32_e32 v2, s27, v4
	s_add_i32 s7, s7, 4
	v_mul_lo_u32 v4, v2, s25
	s_add_u32 s28, s28, 32
	v_sub_u32_e32 v4, v7, v4
	s_addc_u32 s29, s29, 0
	v_mul_lo_u32 v7, v4, s14
	v_mul_lo_u32 v4, v4, s15
	s_cmp_lg_u32 s6, s7
	v_add3_u32 v6, v6, v5, v4
	v_add3_u32 v56, v9, v3, v7
	s_cbranch_scc1 .LBB17_1109
; %bb.1110:
	v_mov_b32_e32 v57, v6
	s_and_b32 s10, s33, 3
	s_cmp_eq_u32 s10, 0
	s_cbranch_scc0 .LBB17_1114
.LBB17_1111:
	s_cbranch_execz .LBB17_1117
	s_branch .LBB17_1119
.LBB17_1112:
                                        ; implicit-def: $vgpr6
                                        ; implicit-def: $vgpr56
	s_branch .LBB17_1117
.LBB17_1113:
	s_mov_b32 s7, s6
	v_pk_mov_b32 v[56:57], s[6:7], s[6:7] op_sel:[0,1]
                                        ; implicit-def: $vgpr6
	v_mov_b32_e32 v2, v1
	s_and_b32 s10, s33, 3
	s_cmp_eq_u32 s10, 0
	s_cbranch_scc1 .LBB17_1111
.LBB17_1114:
	s_lshl_b32 s7, s6, 3
	s_add_u32 s7, s7, s38
	s_addc_u32 s9, 0, s39
	s_add_u32 s8, s7, 0xc4
	s_addc_u32 s9, s9, 0
	s_mul_i32 s6, s6, 12
	s_add_u32 s6, s38, s6
	s_addc_u32 s7, 0, s39
.LBB17_1115:                            ; =>This Inner Loop Header: Depth=1
	s_load_dwordx2 s[12:13], s[6:7], 0x4
	s_load_dword s11, s[6:7], 0xc
	s_load_dwordx2 s[14:15], s[8:9], 0x0
	s_add_u32 s6, s6, 12
	s_addc_u32 s7, s7, 0
	s_waitcnt lgkmcnt(0)
	v_mul_hi_u32 v3, s13, v2
	v_add_u32_e32 v3, v2, v3
	v_lshrrev_b32_e32 v3, s11, v3
	v_mul_lo_u32 v5, v3, s12
	v_mov_b32_e32 v4, v57
	s_add_u32 s8, s8, 8
	v_sub_u32_e32 v6, v2, v5
	s_addc_u32 s9, s9, 0
	s_add_i32 s10, s10, -1
	v_mad_u64_u32 v[4:5], s[12:13], v6, s15, v[4:5]
	v_mad_u64_u32 v[56:57], s[12:13], v6, s14, v[56:57]
	s_cmp_lg_u32 s10, 0
	v_mov_b32_e32 v2, v3
	v_mov_b32_e32 v57, v4
	s_cbranch_scc1 .LBB17_1115
; %bb.1116:
	v_mov_b32_e32 v6, v57
	s_cbranch_execnz .LBB17_1119
.LBB17_1117:
	s_load_dwordx4 s[8:11], s[38:39], 0x4
	s_load_dwordx2 s[6:7], s[38:39], 0xc4
	s_cmp_lt_u32 s82, 2
	s_waitcnt lgkmcnt(0)
	v_mul_hi_u32 v2, s9, v1
	v_add_u32_e32 v2, v1, v2
	v_lshrrev_b32_e32 v2, s10, v2
	v_mul_lo_u32 v3, v2, s8
	v_sub_u32_e32 v1, v1, v3
	v_mul_lo_u32 v6, v1, s7
	v_mul_lo_u32 v56, v1, s6
	s_cbranch_scc1 .LBB17_1119
; %bb.1118:
	s_load_dwordx4 s[8:11], s[38:39], 0x10
	s_load_dwordx2 s[6:7], s[38:39], 0xcc
	s_waitcnt lgkmcnt(0)
	v_mul_hi_u32 v1, s9, v2
	v_add_u32_e32 v1, v2, v1
	v_lshrrev_b32_e32 v1, s10, v1
	v_mul_lo_u32 v1, v1, s8
	v_sub_u32_e32 v1, v2, v1
	v_mad_u64_u32 v[56:57], s[8:9], v1, s6, v[56:57]
	v_mad_u64_u32 v[6:7], s[6:7], v1, s7, v[6:7]
.LBB17_1119:
	s_and_b64 vcc, exec, s[4:5]
	v_add_u32_e32 v1, 0x100, v45
	s_cbranch_vccnz .LBB17_1126
; %bb.1120:
	s_mov_b32 s6, 0
	s_cmp_lg_u32 s82, 0
	v_mov_b32_e32 v4, 0
	v_mov_b32_e32 v46, 0
	s_cbranch_scc0 .LBB17_1125
; %bb.1121:
	s_min_u32 s33, s83, 15
	s_add_i32 s33, s33, 1
	s_cmp_eq_u32 s83, 2
	s_cbranch_scc1 .LBB17_1127
; %bb.1122:
	s_add_u32 s28, s38, 0xc4
	s_addc_u32 s29, s39, 0
	s_and_b32 s6, s33, 28
	s_mov_b32 s7, 0
	v_mov_b32_e32 v46, 0
	s_mov_b64 s[30:31], s[38:39]
	v_mov_b32_e32 v2, v1
	v_mov_b32_e32 v4, 0
.LBB17_1123:                            ; =>This Inner Loop Header: Depth=1
	s_load_dwordx8 s[16:23], s[30:31], 0x4
	s_load_dwordx4 s[24:27], s[30:31], 0x24
	s_load_dwordx8 s[8:15], s[28:29], 0x0
	s_add_u32 s30, s30, 48
	s_addc_u32 s31, s31, 0
	s_waitcnt lgkmcnt(0)
	v_mul_hi_u32 v3, s17, v2
	v_add_u32_e32 v3, v2, v3
	v_lshrrev_b32_e32 v3, s18, v3
	v_mul_lo_u32 v5, v3, s16
	v_mul_hi_u32 v7, s20, v3
	v_sub_u32_e32 v2, v2, v5
	v_add_u32_e32 v5, v3, v7
	v_lshrrev_b32_e32 v5, s21, v5
	v_mul_lo_u32 v9, v5, s19
	v_mul_hi_u32 v10, s23, v5
	v_sub_u32_e32 v3, v3, v9
	v_add_u32_e32 v9, v5, v10
	v_mul_lo_u32 v7, v2, s9
	v_mul_lo_u32 v2, v2, s8
	v_mul_lo_u32 v10, v3, s11
	v_mul_lo_u32 v3, v3, s10
	v_lshrrev_b32_e32 v9, s24, v9
	v_add3_u32 v3, v2, v46, v3
	v_add3_u32 v4, v7, v4, v10
	v_mul_lo_u32 v2, v9, s22
	v_mul_hi_u32 v7, s26, v9
	v_sub_u32_e32 v2, v5, v2
	v_add_u32_e32 v5, v9, v7
	v_mul_lo_u32 v7, v2, s12
	v_mul_lo_u32 v10, v2, s13
	v_lshrrev_b32_e32 v2, s27, v5
	s_add_i32 s7, s7, 4
	v_mul_lo_u32 v5, v2, s25
	s_add_u32 s28, s28, 32
	v_sub_u32_e32 v5, v9, v5
	s_addc_u32 s29, s29, 0
	v_mul_lo_u32 v9, v5, s14
	v_mul_lo_u32 v5, v5, s15
	s_cmp_lg_u32 s6, s7
	v_add3_u32 v4, v10, v4, v5
	v_add3_u32 v46, v7, v3, v9
	s_cbranch_scc1 .LBB17_1123
; %bb.1124:
	v_mov_b32_e32 v47, v4
	s_and_b32 s10, s33, 3
	s_cmp_eq_u32 s10, 0
	s_cbranch_scc0 .LBB17_1128
.LBB17_1125:
	s_cbranch_execz .LBB17_1131
	s_branch .LBB17_1133
.LBB17_1126:
                                        ; implicit-def: $vgpr4
                                        ; implicit-def: $vgpr46
	s_branch .LBB17_1131
.LBB17_1127:
	s_mov_b32 s7, s6
	v_pk_mov_b32 v[46:47], s[6:7], s[6:7] op_sel:[0,1]
                                        ; implicit-def: $vgpr4
	v_mov_b32_e32 v2, v1
	s_and_b32 s10, s33, 3
	s_cmp_eq_u32 s10, 0
	s_cbranch_scc1 .LBB17_1125
.LBB17_1128:
	s_lshl_b32 s7, s6, 3
	s_add_u32 s7, s7, s38
	s_addc_u32 s9, 0, s39
	s_add_u32 s8, s7, 0xc4
	s_addc_u32 s9, s9, 0
	s_mul_i32 s6, s6, 12
	s_add_u32 s6, s38, s6
	s_addc_u32 s7, 0, s39
.LBB17_1129:                            ; =>This Inner Loop Header: Depth=1
	s_load_dwordx2 s[12:13], s[6:7], 0x4
	s_load_dword s11, s[6:7], 0xc
	s_load_dwordx2 s[14:15], s[8:9], 0x0
	s_add_u32 s6, s6, 12
	s_addc_u32 s7, s7, 0
	s_waitcnt lgkmcnt(0)
	v_mul_hi_u32 v3, s13, v2
	v_add_u32_e32 v3, v2, v3
	v_lshrrev_b32_e32 v3, s11, v3
	v_mul_lo_u32 v5, v3, s12
	v_mov_b32_e32 v4, v47
	s_add_u32 s8, s8, 8
	v_sub_u32_e32 v7, v2, v5
	s_addc_u32 s9, s9, 0
	s_add_i32 s10, s10, -1
	v_mad_u64_u32 v[4:5], s[12:13], v7, s15, v[4:5]
	v_mad_u64_u32 v[46:47], s[12:13], v7, s14, v[46:47]
	s_cmp_lg_u32 s10, 0
	v_mov_b32_e32 v2, v3
	v_mov_b32_e32 v47, v4
	s_cbranch_scc1 .LBB17_1129
; %bb.1130:
	v_mov_b32_e32 v4, v47
	s_cbranch_execnz .LBB17_1133
.LBB17_1131:
	s_load_dwordx4 s[8:11], s[38:39], 0x4
	s_load_dwordx2 s[6:7], s[38:39], 0xc4
	s_cmp_lt_u32 s82, 2
	s_waitcnt lgkmcnt(0)
	v_mul_hi_u32 v2, s9, v1
	v_add_u32_e32 v2, v1, v2
	v_lshrrev_b32_e32 v2, s10, v2
	v_mul_lo_u32 v3, v2, s8
	v_sub_u32_e32 v1, v1, v3
	v_mul_lo_u32 v4, v1, s7
	v_mul_lo_u32 v46, v1, s6
	s_cbranch_scc1 .LBB17_1133
; %bb.1132:
	s_load_dwordx4 s[8:11], s[38:39], 0x10
	s_load_dwordx2 s[6:7], s[38:39], 0xcc
	s_waitcnt lgkmcnt(0)
	v_mul_hi_u32 v1, s9, v2
	v_add_u32_e32 v1, v2, v1
	v_lshrrev_b32_e32 v1, s10, v1
	v_mul_lo_u32 v1, v1, s8
	v_sub_u32_e32 v1, v2, v1
	v_mad_u64_u32 v[46:47], s[8:9], v1, s6, v[46:47]
	v_mad_u64_u32 v[4:5], s[6:7], v1, s7, v[4:5]
.LBB17_1133:
	s_and_b64 vcc, exec, s[4:5]
	s_cbranch_vccnz .LBB17_1140
; %bb.1134:
	s_mov_b32 s24, 0
	s_cmp_lg_u32 s82, 0
	v_mov_b32_e32 v2, 0
	v_mov_b32_e32 v44, 0
	s_cbranch_scc0 .LBB17_1139
; %bb.1135:
	s_min_u32 s30, s83, 15
	s_add_i32 s30, s30, 1
	s_cmp_eq_u32 s83, 2
	s_cbranch_scc1 .LBB17_1141
; %bb.1136:
	s_add_u32 s26, s38, 0xc4
	s_addc_u32 s27, s39, 0
	s_and_b32 s24, s30, 28
	s_mov_b32 s25, 0
	v_mov_b32_e32 v44, 0
	s_mov_b64 s[28:29], s[38:39]
	v_mov_b32_e32 v1, v8
	v_mov_b32_e32 v2, 0
.LBB17_1137:                            ; =>This Inner Loop Header: Depth=1
	s_load_dwordx8 s[12:19], s[28:29], 0x4
	s_load_dwordx4 s[20:23], s[28:29], 0x24
	s_load_dwordx8 s[4:11], s[26:27], 0x0
	s_add_u32 s28, s28, 48
	s_addc_u32 s29, s29, 0
	s_waitcnt lgkmcnt(0)
	v_mul_hi_u32 v3, s13, v1
	v_add_u32_e32 v3, v1, v3
	v_lshrrev_b32_e32 v3, s14, v3
	v_mul_lo_u32 v5, v3, s12
	v_mul_hi_u32 v7, s16, v3
	v_sub_u32_e32 v1, v1, v5
	v_add_u32_e32 v5, v3, v7
	v_lshrrev_b32_e32 v5, s17, v5
	v_mul_lo_u32 v9, v5, s15
	v_mul_hi_u32 v10, s19, v5
	v_sub_u32_e32 v3, v3, v9
	v_add_u32_e32 v9, v5, v10
	v_mul_lo_u32 v7, v1, s5
	v_mul_lo_u32 v1, v1, s4
	;; [unrolled: 1-line block ×4, first 2 shown]
	v_lshrrev_b32_e32 v9, s20, v9
	v_add3_u32 v3, v1, v44, v3
	v_add3_u32 v2, v7, v2, v10
	v_mul_lo_u32 v1, v9, s18
	v_mul_hi_u32 v7, s22, v9
	v_sub_u32_e32 v1, v5, v1
	v_add_u32_e32 v5, v9, v7
	v_mul_lo_u32 v7, v1, s8
	v_mul_lo_u32 v10, v1, s9
	v_lshrrev_b32_e32 v1, s23, v5
	s_add_i32 s25, s25, 4
	v_mul_lo_u32 v5, v1, s21
	s_add_u32 s26, s26, 32
	v_sub_u32_e32 v5, v9, v5
	s_addc_u32 s27, s27, 0
	v_mul_lo_u32 v9, v5, s10
	v_mul_lo_u32 v5, v5, s11
	s_cmp_lg_u32 s24, s25
	v_add3_u32 v2, v10, v2, v5
	v_add3_u32 v44, v7, v3, v9
	s_cbranch_scc1 .LBB17_1137
; %bb.1138:
	v_mov_b32_e32 v45, v2
	s_and_b32 s8, s30, 3
	s_cmp_eq_u32 s8, 0
	s_cbranch_scc0 .LBB17_1142
.LBB17_1139:
	s_cbranch_execz .LBB17_1145
	s_branch .LBB17_1147
.LBB17_1140:
                                        ; implicit-def: $vgpr2
                                        ; implicit-def: $vgpr44
	s_branch .LBB17_1145
.LBB17_1141:
	s_mov_b32 s25, s24
	v_pk_mov_b32 v[44:45], s[24:25], s[24:25] op_sel:[0,1]
                                        ; implicit-def: $vgpr2
	v_mov_b32_e32 v1, v8
	s_and_b32 s8, s30, 3
	s_cmp_eq_u32 s8, 0
	s_cbranch_scc1 .LBB17_1139
.LBB17_1142:
	s_lshl_b32 s4, s24, 3
	s_add_u32 s4, s4, s38
	s_addc_u32 s5, 0, s39
	s_add_u32 s4, s4, 0xc4
	s_addc_u32 s5, s5, 0
	s_mul_i32 s6, s24, 12
	s_add_u32 s6, s38, s6
	s_addc_u32 s7, 0, s39
.LBB17_1143:                            ; =>This Inner Loop Header: Depth=1
	s_load_dwordx2 s[10:11], s[6:7], 0x4
	s_load_dword s9, s[6:7], 0xc
	s_load_dwordx2 s[12:13], s[4:5], 0x0
	s_add_u32 s6, s6, 12
	s_addc_u32 s7, s7, 0
	s_waitcnt lgkmcnt(0)
	v_mul_hi_u32 v3, s11, v1
	v_add_u32_e32 v3, v1, v3
	v_lshrrev_b32_e32 v3, s9, v3
	v_mul_lo_u32 v5, v3, s10
	v_mov_b32_e32 v2, v45
	s_add_u32 s4, s4, 8
	v_sub_u32_e32 v5, v1, v5
	s_addc_u32 s5, s5, 0
	s_add_i32 s8, s8, -1
	v_mov_b32_e32 v1, v3
	v_mad_u64_u32 v[2:3], s[10:11], v5, s13, v[2:3]
	v_mad_u64_u32 v[44:45], s[10:11], v5, s12, v[44:45]
	s_cmp_lg_u32 s8, 0
	v_mov_b32_e32 v45, v2
	s_cbranch_scc1 .LBB17_1143
; %bb.1144:
	v_mov_b32_e32 v2, v45
	s_cbranch_execnz .LBB17_1147
.LBB17_1145:
	s_load_dwordx4 s[4:7], s[38:39], 0x4
	s_load_dwordx2 s[8:9], s[38:39], 0xc4
	s_cmp_lt_u32 s82, 2
	s_waitcnt lgkmcnt(0)
	v_mul_hi_u32 v1, s5, v8
	v_add_u32_e32 v1, v8, v1
	v_lshrrev_b32_e32 v1, s6, v1
	v_mul_lo_u32 v2, v1, s4
	v_sub_u32_e32 v3, v8, v2
	v_mul_lo_u32 v2, v3, s9
	v_mul_lo_u32 v44, v3, s8
	s_cbranch_scc1 .LBB17_1147
; %bb.1146:
	s_load_dwordx4 s[4:7], s[38:39], 0x10
	s_load_dwordx2 s[8:9], s[38:39], 0xcc
	s_waitcnt lgkmcnt(0)
	v_mul_hi_u32 v3, s5, v1
	v_add_u32_e32 v3, v1, v3
	v_lshrrev_b32_e32 v3, s6, v3
	v_mul_lo_u32 v3, v3, s4
	v_sub_u32_e32 v1, v1, v3
	v_mad_u64_u32 v[44:45], s[4:5], v1, s8, v[44:45]
	v_mad_u64_u32 v[2:3], s[4:5], v1, s9, v[2:3]
.LBB17_1147:
	s_load_dword s14, s[36:37], 0x160
	s_load_dwordx4 s[40:43], s[38:39], 0x148
	s_waitcnt lgkmcnt(0)
	s_lshr_b32 s15, s14, 16
	v_mov_b32_e32 v1, s43
	v_add_co_u32_e32 v8, vcc, s42, v0
	v_mov_b32_e32 v0, 11
	v_addc_co_u32_e32 v9, vcc, 0, v1, vcc
	v_cmp_lt_i16_sdwa s[4:5], s15, v0 src0_sel:BYTE_0 src1_sel:DWORD
	s_and_b64 vcc, exec, s[4:5]
	s_cbranch_vccnz .LBB17_1154
; %bb.1148:
	v_mov_b32_e32 v0, 25
	v_cmp_gt_i16_sdwa s[4:5], s15, v0 src0_sel:BYTE_0 src1_sel:DWORD
	s_mov_b64 s[6:7], 0
	s_and_b64 vcc, exec, s[4:5]
	s_cbranch_vccz .LBB17_1156
; %bb.1149:
	v_mov_b32_e32 v0, 28
	v_cmp_gt_i16_sdwa s[4:5], s15, v0 src0_sel:BYTE_0 src1_sel:DWORD
	s_and_b64 vcc, exec, s[4:5]
	s_cbranch_vccz .LBB17_1157
; %bb.1150:
	v_mov_b32_e32 v0, 43
	v_cmp_gt_i16_sdwa s[4:5], s15, v0 src0_sel:BYTE_0 src1_sel:DWORD
	;; [unrolled: 5-line block ×3, first 2 shown]
	s_and_b64 vcc, exec, s[4:5]
	s_cbranch_vccz .LBB17_1159
; %bb.1152:
	v_mov_b32_e32 v0, 46
	v_cmp_eq_u16_sdwa s[4:5], s15, v0 src0_sel:BYTE_0 src1_sel:DWORD
	s_mov_b64 s[10:11], 0
	s_and_b64 vcc, exec, s[4:5]
	s_cbranch_vccz .LBB17_1162
; %bb.1153:
	global_load_dword v0, v[8:9], off
	s_mov_b64 s[4:5], 0
	s_mov_b64 s[8:9], -1
	s_waitcnt vmcnt(0)
	v_lshlrev_b32_e32 v0, 16, v0
	s_branch .LBB17_1163
.LBB17_1154:
	s_mov_b64 s[8:9], 0
                                        ; implicit-def: $vgpr0
	s_mov_b64 s[36:37], s[44:45]
	s_cbranch_execnz .LBB17_1226
.LBB17_1155:
	s_andn2_b64 vcc, exec, s[8:9]
	s_cbranch_vccz .LBB17_1271
	s_branch .LBB17_2112
.LBB17_1156:
	s_mov_b64 s[8:9], 0
	s_mov_b64 s[4:5], 0
                                        ; implicit-def: $vgpr0
	s_cbranch_execnz .LBB17_1191
	s_branch .LBB17_1222
.LBB17_1157:
	s_mov_b64 s[10:11], -1
	s_mov_b64 s[8:9], 0
	s_mov_b64 s[4:5], 0
                                        ; implicit-def: $vgpr0
	s_branch .LBB17_1172
.LBB17_1158:
	s_mov_b64 s[8:9], 0
	s_mov_b64 s[4:5], 0
                                        ; implicit-def: $vgpr0
	s_cbranch_execnz .LBB17_1168
	s_branch .LBB17_1171
.LBB17_1159:
	s_mov_b64 s[10:11], -1
	s_mov_b64 s[8:9], 0
	s_mov_b64 s[4:5], 0
                                        ; implicit-def: $vgpr0
	s_branch .LBB17_1163
.LBB17_1160:
	s_or_saveexec_b64 s[10:11], s[10:11]
                                        ; implicit-def: $sgpr12
	s_xor_b64 exec, exec, s[10:11]
	s_cbranch_execz .LBB17_1003
.LBB17_1161:
	s_mov_b32 s12, 0x46000000
	v_add_f32_e64 v1, |v0|, s12
	v_and_b32_e32 v1, 0xff, v1
	v_cmp_ne_u32_e32 vcc, 0, v1
	s_andn2_b64 s[8:9], s[8:9], exec
	s_and_b64 s[14:15], vcc, exec
	s_mov_b32 s12, 0
	s_or_b64 s[8:9], s[8:9], s[14:15]
	s_or_b64 exec, exec, s[10:11]
	v_mov_b32_e32 v5, s12
	s_and_saveexec_b64 s[10:11], s[8:9]
	s_cbranch_execnz .LBB17_1004
	s_branch .LBB17_1005
.LBB17_1162:
	s_mov_b64 s[4:5], -1
                                        ; implicit-def: $vgpr0
	s_mov_b64 s[8:9], 0
.LBB17_1163:
	s_and_b64 vcc, exec, s[10:11]
	s_cbranch_vccz .LBB17_1166
; %bb.1164:
	v_mov_b32_e32 v0, 44
	v_cmp_eq_u16_sdwa s[4:5], s15, v0 src0_sel:BYTE_0 src1_sel:DWORD
	s_and_b64 vcc, exec, s[4:5]
	s_cbranch_vccz .LBB17_1167
; %bb.1165:
	global_load_ubyte v0, v[8:9], off
	s_movk_i32 s8, 0xff
	v_mov_b32_e32 v1, 0x7f800001
	v_mov_b32_e32 v3, 0x400000
	s_mov_b64 s[4:5], 0
	s_waitcnt vmcnt(0)
	v_lshlrev_b32_e32 v5, 23, v0
	v_cmp_ne_u32_e32 vcc, s8, v0
	v_cndmask_b32_e32 v1, v1, v5, vcc
	v_cmp_ne_u32_e32 vcc, 0, v0
	v_cndmask_b32_e32 v0, v3, v1, vcc
	s_mov_b64 s[8:9], -1
.LBB17_1166:
	s_branch .LBB17_1171
.LBB17_1167:
	s_mov_b64 s[4:5], -1
                                        ; implicit-def: $vgpr0
	s_branch .LBB17_1171
.LBB17_1168:
	v_mov_b32_e32 v0, 29
	v_cmp_eq_u16_sdwa s[4:5], s15, v0 src0_sel:BYTE_0 src1_sel:DWORD
	s_and_b64 vcc, exec, s[4:5]
	s_cbranch_vccz .LBB17_1170
; %bb.1169:
	global_load_dwordx2 v[0:1], v[8:9], off
	s_mov_b64 s[4:5], 0
	s_mov_b64 s[8:9], -1
	s_mov_b64 s[10:11], 0
	s_waitcnt vmcnt(0)
	v_ffbh_u32_e32 v3, v1
	v_min_u32_e32 v3, 32, v3
	v_lshlrev_b64 v[0:1], v3, v[0:1]
	v_min_u32_e32 v0, 1, v0
	v_or_b32_e32 v0, v1, v0
	v_cvt_f32_u32_e32 v0, v0
	v_sub_u32_e32 v1, 32, v3
	v_ldexp_f32 v0, v0, v1
	s_branch .LBB17_1172
.LBB17_1170:
	s_mov_b64 s[4:5], -1
                                        ; implicit-def: $vgpr0
.LBB17_1171:
	s_mov_b64 s[10:11], 0
.LBB17_1172:
	s_and_b64 vcc, exec, s[10:11]
	s_cbranch_vccz .LBB17_1190
; %bb.1173:
	v_mov_b32_e32 v0, 27
	v_cmp_lt_i16_sdwa s[8:9], s15, v0 src0_sel:BYTE_0 src1_sel:DWORD
	s_and_b64 vcc, exec, s[8:9]
	s_cbranch_vccnz .LBB17_1176
; %bb.1174:
	v_cmp_gt_i16_sdwa s[8:9], s15, v0 src0_sel:BYTE_0 src1_sel:DWORD
	s_and_b64 vcc, exec, s[8:9]
	s_cbranch_vccz .LBB17_1177
; %bb.1175:
	global_load_dword v0, v[8:9], off
	s_mov_b64 s[8:9], 0
	s_waitcnt vmcnt(0)
	v_cvt_f32_u32_e32 v0, v0
	s_branch .LBB17_1178
.LBB17_1176:
	s_mov_b64 s[8:9], -1
                                        ; implicit-def: $vgpr0
	s_branch .LBB17_1181
.LBB17_1177:
	s_mov_b64 s[8:9], -1
                                        ; implicit-def: $vgpr0
.LBB17_1178:
	s_andn2_b64 vcc, exec, s[8:9]
	s_cbranch_vccnz .LBB17_1180
; %bb.1179:
	global_load_ushort v0, v[8:9], off
	s_waitcnt vmcnt(0)
	v_cvt_f32_u32_e32 v0, v0
.LBB17_1180:
	s_mov_b64 s[8:9], 0
.LBB17_1181:
	s_andn2_b64 vcc, exec, s[8:9]
	s_cbranch_vccnz .LBB17_1189
; %bb.1182:
	global_load_ubyte v1, v[8:9], off
	s_movk_i32 s8, 0x7f
                                        ; implicit-def: $sgpr16
	s_waitcnt vmcnt(0)
	v_cmp_lt_i16_e32 vcc, s8, v1
	s_mov_b64 s[8:9], 0
	s_and_saveexec_b64 s[10:11], vcc
	s_xor_b64 s[10:11], exec, s[10:11]
	s_cbranch_execz .LBB17_1202
; %bb.1183:
	s_movk_i32 s8, 0x80
	v_cmp_eq_u16_e32 vcc, s8, v1
	s_mov_b64 s[8:9], -1
                                        ; implicit-def: $sgpr16
	s_and_saveexec_b64 s[12:13], vcc
; %bb.1184:
	s_mov_b32 s16, 0x7f800001
	s_xor_b64 s[8:9], exec, -1
; %bb.1185:
	s_or_b64 exec, exec, s[12:13]
	s_and_b64 s[8:9], s[8:9], exec
	s_or_saveexec_b64 s[10:11], s[10:11]
	v_mov_b32_e32 v0, s16
	s_xor_b64 exec, exec, s[10:11]
	s_cbranch_execnz .LBB17_1203
.LBB17_1186:
	s_or_b64 exec, exec, s[10:11]
	s_and_saveexec_b64 s[10:11], s[8:9]
	s_cbranch_execz .LBB17_1188
.LBB17_1187:
	v_lshlrev_b32_e32 v0, 24, v1
	v_and_b32_e32 v1, 0xffff, v1
	v_and_b32_e32 v3, 7, v1
	v_ffbh_u32_e32 v7, v3
	v_min_u32_e32 v7, 32, v7
	v_subrev_u32_e32 v10, 28, v7
	v_bfe_u32 v5, v1, 3, 4
	v_lshlrev_b32_e32 v1, v10, v1
	v_sub_u32_e32 v7, 29, v7
	v_and_b32_e32 v1, 7, v1
	v_cmp_eq_u32_e32 vcc, 0, v5
	v_cndmask_b32_e32 v5, v5, v7, vcc
	v_cndmask_b32_e32 v1, v3, v1, vcc
	v_mov_b32_e32 v3, 0x3b800000
	v_lshlrev_b32_e32 v1, 20, v1
	v_and_b32_e32 v0, 0x80000000, v0
	v_lshl_add_u32 v3, v5, 23, v3
	v_or3_b32 v0, v0, v3, v1
.LBB17_1188:
	s_or_b64 exec, exec, s[10:11]
.LBB17_1189:
	s_mov_b64 s[8:9], -1
.LBB17_1190:
	s_branch .LBB17_1222
.LBB17_1191:
	v_mov_b32_e32 v0, 22
	v_cmp_gt_i16_sdwa s[6:7], s15, v0 src0_sel:BYTE_0 src1_sel:DWORD
	s_and_b64 vcc, exec, s[6:7]
	s_cbranch_vccz .LBB17_1201
; %bb.1192:
	v_mov_b32_e32 v0, 24
	v_cmp_lt_i16_sdwa s[6:7], s15, v0 src0_sel:BYTE_0 src1_sel:DWORD
	s_and_b64 vcc, exec, s[6:7]
	s_cbranch_vccnz .LBB17_1204
; %bb.1193:
	v_cmp_gt_i16_sdwa s[6:7], s15, v0 src0_sel:BYTE_0 src1_sel:DWORD
	s_and_b64 vcc, exec, s[6:7]
	s_cbranch_vccz .LBB17_1205
; %bb.1194:
	global_load_ubyte v1, v[8:9], off
	s_movk_i32 s6, 0x7f
                                        ; implicit-def: $sgpr12
	s_waitcnt vmcnt(0)
	v_cmp_lt_i16_e32 vcc, s6, v1
	s_mov_b64 s[6:7], 0
	s_and_saveexec_b64 s[8:9], vcc
	s_xor_b64 s[8:9], exec, s[8:9]
	s_cbranch_execz .LBB17_1216
; %bb.1195:
	s_movk_i32 s6, 0x80
	v_cmp_eq_u16_e32 vcc, s6, v1
	s_mov_b64 s[6:7], -1
                                        ; implicit-def: $sgpr12
	s_and_saveexec_b64 s[10:11], vcc
; %bb.1196:
	s_mov_b32 s12, 0x7f800001
	s_xor_b64 s[6:7], exec, -1
; %bb.1197:
	s_or_b64 exec, exec, s[10:11]
	s_and_b64 s[6:7], s[6:7], exec
	s_or_saveexec_b64 s[8:9], s[8:9]
	v_mov_b32_e32 v0, s12
	s_xor_b64 exec, exec, s[8:9]
	s_cbranch_execnz .LBB17_1217
.LBB17_1198:
	s_or_b64 exec, exec, s[8:9]
	s_and_saveexec_b64 s[8:9], s[6:7]
	s_cbranch_execz .LBB17_1200
.LBB17_1199:
	v_lshlrev_b32_e32 v0, 24, v1
	v_and_b32_e32 v1, 0xffff, v1
	v_and_b32_e32 v3, 3, v1
	v_ffbh_u32_e32 v7, v3
	v_min_u32_e32 v7, 32, v7
	v_subrev_u32_e32 v10, 29, v7
	v_bfe_u32 v5, v1, 2, 5
	v_lshlrev_b32_e32 v1, v10, v1
	v_sub_u32_e32 v7, 30, v7
	v_and_b32_e32 v1, 3, v1
	v_cmp_eq_u32_e32 vcc, 0, v5
	v_cndmask_b32_e32 v5, v5, v7, vcc
	v_cndmask_b32_e32 v1, v3, v1, vcc
	v_mov_b32_e32 v3, 0x37800000
	v_lshlrev_b32_e32 v1, 21, v1
	v_and_b32_e32 v0, 0x80000000, v0
	v_lshl_add_u32 v3, v5, 23, v3
	v_or3_b32 v0, v0, v3, v1
.LBB17_1200:
	s_or_b64 exec, exec, s[8:9]
	s_mov_b64 s[6:7], 0
	s_branch .LBB17_1206
.LBB17_1201:
                                        ; implicit-def: $vgpr0
	s_mov_b64 s[6:7], 0
	s_branch .LBB17_1212
.LBB17_1202:
	s_or_saveexec_b64 s[10:11], s[10:11]
	v_mov_b32_e32 v0, s16
	s_xor_b64 exec, exec, s[10:11]
	s_cbranch_execz .LBB17_1186
.LBB17_1203:
	v_cmp_ne_u16_e32 vcc, 0, v1
	s_andn2_b64 s[8:9], s[8:9], exec
	s_and_b64 s[12:13], vcc, exec
	v_mov_b32_e32 v0, 0
	s_or_b64 s[8:9], s[8:9], s[12:13]
	s_or_b64 exec, exec, s[10:11]
	s_and_saveexec_b64 s[10:11], s[8:9]
	s_cbranch_execnz .LBB17_1187
	s_branch .LBB17_1188
.LBB17_1204:
	s_mov_b64 s[6:7], -1
                                        ; implicit-def: $vgpr0
	s_branch .LBB17_1209
.LBB17_1205:
	s_mov_b64 s[6:7], -1
                                        ; implicit-def: $vgpr0
.LBB17_1206:
	s_and_b64 vcc, exec, s[6:7]
	s_cbranch_vccz .LBB17_1208
; %bb.1207:
	global_load_ubyte v0, v[8:9], off
	s_mov_b32 s6, 0x7f800000
	s_waitcnt vmcnt(0)
	v_lshlrev_b32_e32 v0, 24, v0
	v_and_b32_e32 v1, 0x7f000000, v0
	v_ffbh_u32_e32 v3, v1
	v_min_u32_e32 v3, 32, v3
	v_sub_u32_e64 v3, v3, 4 clamp
	v_lshlrev_b32_e32 v7, v3, v1
	v_lshlrev_b32_e32 v3, 23, v3
	v_lshrrev_b32_e32 v7, 4, v7
	v_add_u32_e32 v5, 0x1000000, v1
	v_sub_u32_e32 v3, v7, v3
	v_ashrrev_i32_e32 v5, 8, v5
	v_add_u32_e32 v3, 0x3c000000, v3
	v_and_or_b32 v3, v5, s6, v3
	v_cmp_ne_u32_e32 vcc, 0, v1
	v_cndmask_b32_e32 v1, 0, v3, vcc
	s_brev_b32 s6, 1
	v_and_or_b32 v0, v0, s6, v1
.LBB17_1208:
	s_mov_b64 s[6:7], 0
.LBB17_1209:
	s_andn2_b64 vcc, exec, s[6:7]
	s_cbranch_vccnz .LBB17_1211
; %bb.1210:
	global_load_ubyte v0, v[8:9], off
	s_movk_i32 s6, 0x7f00
	s_brev_b32 s7, 16
	s_waitcnt vmcnt(0)
	v_lshlrev_b16_e32 v1, 8, v0
	v_lshlrev_b32_e32 v0, 25, v0
	v_lshrrev_b32_e32 v3, 4, v0
	v_and_or_b32 v5, v1, s6, 0.5
	v_or_b32_e32 v3, 0x70000000, v3
	v_add_f32_e32 v5, -0.5, v5
	v_mul_f32_e32 v3, 0x7800000, v3
	v_cmp_gt_u32_e32 vcc, s7, v0
	v_bfe_i32 v1, v1, 0, 16
	v_cndmask_b32_e32 v0, v3, v5, vcc
	s_brev_b32 s6, 1
	v_and_or_b32 v0, v1, s6, v0
.LBB17_1211:
	s_mov_b64 s[8:9], -1
	s_mov_b64 s[6:7], 0
	s_cbranch_execnz .LBB17_1222
.LBB17_1212:
	v_mov_b32_e32 v0, 14
	v_cmp_gt_i16_sdwa s[6:7], s15, v0 src0_sel:BYTE_0 src1_sel:DWORD
	s_and_b64 vcc, exec, s[6:7]
	s_cbranch_vccz .LBB17_1215
; %bb.1213:
	v_mov_b32_e32 v0, 15
	v_cmp_eq_u16_sdwa s[4:5], s15, v0 src0_sel:BYTE_0 src1_sel:DWORD
	s_and_b64 vcc, exec, s[4:5]
	s_cbranch_vccz .LBB17_1218
; %bb.1214:
	global_load_ushort v0, v[8:9], off
	s_mov_b64 s[4:5], 0
	s_mov_b64 s[8:9], -1
	s_waitcnt vmcnt(0)
	v_lshlrev_b32_e32 v0, 16, v0
	s_branch .LBB17_1219
.LBB17_1215:
	s_mov_b64 s[10:11], -1
                                        ; implicit-def: $vgpr0
	s_branch .LBB17_1220
.LBB17_1216:
	s_or_saveexec_b64 s[8:9], s[8:9]
	v_mov_b32_e32 v0, s12
	s_xor_b64 exec, exec, s[8:9]
	s_cbranch_execz .LBB17_1198
.LBB17_1217:
	v_cmp_ne_u16_e32 vcc, 0, v1
	s_andn2_b64 s[6:7], s[6:7], exec
	s_and_b64 s[10:11], vcc, exec
	v_mov_b32_e32 v0, 0
	s_or_b64 s[6:7], s[6:7], s[10:11]
	s_or_b64 exec, exec, s[8:9]
	s_and_saveexec_b64 s[8:9], s[6:7]
	s_cbranch_execnz .LBB17_1199
	s_branch .LBB17_1200
.LBB17_1218:
	s_mov_b64 s[4:5], -1
                                        ; implicit-def: $vgpr0
.LBB17_1219:
	s_mov_b64 s[10:11], 0
.LBB17_1220:
	s_mov_b64 s[6:7], 0
	s_and_b64 vcc, exec, s[10:11]
	s_cbranch_vccz .LBB17_1222
; %bb.1221:
	v_mov_b32_e32 v0, 11
	v_cmp_ne_u16_sdwa s[4:5], s15, v0 src0_sel:BYTE_0 src1_sel:DWORD
	s_mov_b64 s[6:7], -1
                                        ; implicit-def: $vgpr0
.LBB17_1222:
	s_and_b64 vcc, exec, s[4:5]
	s_mov_b64 s[36:37], s[44:45]
	s_cbranch_vccnz .LBB17_1283
; %bb.1223:
	s_andn2_b64 vcc, exec, s[6:7]
	s_cbranch_vccnz .LBB17_1225
.LBB17_1224:
	global_load_ubyte v0, v[8:9], off
	s_mov_b64 s[8:9], -1
	s_waitcnt vmcnt(0)
	v_cmp_ne_u16_e32 vcc, 0, v0
	v_cndmask_b32_e64 v0, 0, 1.0, vcc
.LBB17_1225:
	s_branch .LBB17_1155
.LBB17_1226:
	v_mov_b32_e32 v0, 5
	v_cmp_lt_i16_sdwa s[4:5], s15, v0 src0_sel:BYTE_0 src1_sel:DWORD
	s_and_b64 vcc, exec, s[4:5]
	s_cbranch_vccnz .LBB17_1231
; %bb.1227:
	v_mov_b32_e32 v0, 8
	v_cmp_lt_i16_sdwa s[4:5], s15, v0 src0_sel:BYTE_0 src1_sel:DWORD
	s_and_b64 vcc, exec, s[4:5]
	s_cbranch_vccnz .LBB17_1232
; %bb.1228:
	v_mov_b32_e32 v0, 9
	v_cmp_lt_i16_sdwa s[4:5], s15, v0 src0_sel:BYTE_0 src1_sel:DWORD
	s_and_b64 vcc, exec, s[4:5]
	s_cbranch_vccnz .LBB17_1233
; %bb.1229:
	v_cmp_gt_i16_sdwa s[4:5], s15, v0 src0_sel:BYTE_0 src1_sel:DWORD
	s_and_b64 vcc, exec, s[4:5]
	s_cbranch_vccz .LBB17_1234
; %bb.1230:
	global_load_dwordx2 v[0:1], v[8:9], off
	s_mov_b64 s[4:5], 0
	s_waitcnt vmcnt(0)
	v_cvt_f32_f64_e32 v0, v[0:1]
	s_branch .LBB17_1235
.LBB17_1231:
                                        ; implicit-def: $vgpr0
	s_branch .LBB17_1252
.LBB17_1232:
                                        ; implicit-def: $vgpr0
	s_branch .LBB17_1241
.LBB17_1233:
	s_mov_b64 s[4:5], -1
                                        ; implicit-def: $vgpr0
	s_branch .LBB17_1238
.LBB17_1234:
	s_mov_b64 s[4:5], -1
                                        ; implicit-def: $vgpr0
.LBB17_1235:
	s_andn2_b64 vcc, exec, s[4:5]
	s_cbranch_vccnz .LBB17_1237
; %bb.1236:
	global_load_dword v0, v[8:9], off
.LBB17_1237:
	s_mov_b64 s[4:5], 0
.LBB17_1238:
	s_andn2_b64 vcc, exec, s[4:5]
	s_cbranch_vccnz .LBB17_1240
; %bb.1239:
	global_load_dword v0, v[8:9], off
	s_waitcnt vmcnt(0)
	v_cvt_f32_f16_e32 v0, v0
.LBB17_1240:
	s_cbranch_execnz .LBB17_1251
.LBB17_1241:
	s_waitcnt vmcnt(0)
	v_mov_b32_e32 v0, 6
	v_cmp_lt_i16_sdwa s[4:5], s15, v0 src0_sel:BYTE_0 src1_sel:DWORD
	s_and_b64 vcc, exec, s[4:5]
	s_cbranch_vccnz .LBB17_1244
; %bb.1242:
	v_cmp_gt_i16_sdwa s[4:5], s15, v0 src0_sel:BYTE_0 src1_sel:DWORD
	s_and_b64 vcc, exec, s[4:5]
	s_cbranch_vccz .LBB17_1245
; %bb.1243:
	global_load_dwordx2 v[0:1], v[8:9], off
	s_mov_b64 s[4:5], 0
	s_waitcnt vmcnt(0)
	v_cvt_f32_f64_e32 v0, v[0:1]
	s_branch .LBB17_1246
.LBB17_1244:
	s_mov_b64 s[4:5], -1
                                        ; implicit-def: $vgpr0
	s_branch .LBB17_1249
.LBB17_1245:
	s_mov_b64 s[4:5], -1
                                        ; implicit-def: $vgpr0
.LBB17_1246:
	s_andn2_b64 vcc, exec, s[4:5]
	s_cbranch_vccnz .LBB17_1248
; %bb.1247:
	global_load_dword v0, v[8:9], off
.LBB17_1248:
	s_mov_b64 s[4:5], 0
.LBB17_1249:
	s_andn2_b64 vcc, exec, s[4:5]
	s_cbranch_vccnz .LBB17_1251
; %bb.1250:
	global_load_ushort v0, v[8:9], off
	s_waitcnt vmcnt(0)
	v_cvt_f32_f16_e32 v0, v0
.LBB17_1251:
	s_cbranch_execnz .LBB17_1270
.LBB17_1252:
	s_waitcnt vmcnt(0)
	v_mov_b32_e32 v0, 2
	v_cmp_lt_i16_sdwa s[4:5], s15, v0 src0_sel:BYTE_0 src1_sel:DWORD
	s_and_b64 vcc, exec, s[4:5]
	s_cbranch_vccnz .LBB17_1256
; %bb.1253:
	v_mov_b32_e32 v0, 3
	v_cmp_lt_i16_sdwa s[4:5], s15, v0 src0_sel:BYTE_0 src1_sel:DWORD
	s_and_b64 vcc, exec, s[4:5]
	s_cbranch_vccnz .LBB17_1257
; %bb.1254:
	v_cmp_gt_i16_sdwa s[4:5], s15, v0 src0_sel:BYTE_0 src1_sel:DWORD
	s_and_b64 vcc, exec, s[4:5]
	s_cbranch_vccz .LBB17_1258
; %bb.1255:
	global_load_dwordx2 v[0:1], v[8:9], off
	s_mov_b64 s[4:5], 0
	s_waitcnt vmcnt(0)
	v_xor_b32_e32 v5, v0, v1
	v_ffbh_i32_e32 v3, v1
	v_ashrrev_i32_e32 v5, 31, v5
	v_add_u32_e32 v3, -1, v3
	v_add_u32_e32 v5, 32, v5
	v_min_u32_e32 v3, v3, v5
	v_lshlrev_b64 v[0:1], v3, v[0:1]
	v_min_u32_e32 v0, 1, v0
	v_or_b32_e32 v0, v1, v0
	v_cvt_f32_i32_e32 v0, v0
	v_sub_u32_e32 v1, 32, v3
	v_ldexp_f32 v0, v0, v1
	s_branch .LBB17_1259
.LBB17_1256:
                                        ; implicit-def: $vgpr0
	s_branch .LBB17_1265
.LBB17_1257:
	s_mov_b64 s[4:5], -1
                                        ; implicit-def: $vgpr0
	s_branch .LBB17_1262
.LBB17_1258:
	s_mov_b64 s[4:5], -1
                                        ; implicit-def: $vgpr0
.LBB17_1259:
	s_andn2_b64 vcc, exec, s[4:5]
	s_cbranch_vccnz .LBB17_1261
; %bb.1260:
	global_load_dword v0, v[8:9], off
	s_waitcnt vmcnt(0)
	v_cvt_f32_i32_e32 v0, v0
.LBB17_1261:
	s_mov_b64 s[4:5], 0
.LBB17_1262:
	s_andn2_b64 vcc, exec, s[4:5]
	s_cbranch_vccnz .LBB17_1264
; %bb.1263:
	global_load_sshort v0, v[8:9], off
	s_waitcnt vmcnt(0)
	v_cvt_f32_i32_e32 v0, v0
.LBB17_1264:
	s_cbranch_execnz .LBB17_1270
.LBB17_1265:
	v_mov_b32_e32 v0, 0
	v_cmp_gt_i16_sdwa s[4:5], s15, v0 src0_sel:BYTE_0 src1_sel:DWORD
	s_and_b64 vcc, exec, s[4:5]
	s_cbranch_vccz .LBB17_1267
; %bb.1266:
	global_load_sbyte v0, v[8:9], off
	s_mov_b64 s[4:5], 0
	s_waitcnt vmcnt(0)
	v_cvt_f32_i32_e32 v0, v0
	s_branch .LBB17_1268
.LBB17_1267:
	s_mov_b64 s[4:5], -1
                                        ; implicit-def: $vgpr0
.LBB17_1268:
	s_andn2_b64 vcc, exec, s[4:5]
	s_cbranch_vccnz .LBB17_1270
; %bb.1269:
	global_load_ubyte v0, v[8:9], off
	s_waitcnt vmcnt(0)
	v_cvt_f32_ubyte0_e32 v0, v0
.LBB17_1270:
.LBB17_1271:
	v_mov_b32_e32 v1, s43
	v_add_co_u32_e32 v6, vcc, s42, v6
	v_addc_co_u32_e32 v7, vcc, 0, v1, vcc
	v_mov_b32_e32 v1, 11
	v_cmp_lt_i16_sdwa s[4:5], s15, v1 src0_sel:BYTE_0 src1_sel:DWORD
	s_and_b64 vcc, exec, s[4:5]
	s_cbranch_vccnz .LBB17_1278
; %bb.1272:
	v_mov_b32_e32 v1, 25
	v_cmp_gt_i16_sdwa s[4:5], s15, v1 src0_sel:BYTE_0 src1_sel:DWORD
	s_mov_b64 s[6:7], 0
	s_and_b64 vcc, exec, s[4:5]
	s_cbranch_vccz .LBB17_1280
; %bb.1273:
	v_mov_b32_e32 v1, 28
	v_cmp_gt_i16_sdwa s[4:5], s15, v1 src0_sel:BYTE_0 src1_sel:DWORD
	s_and_b64 vcc, exec, s[4:5]
	s_cbranch_vccz .LBB17_1281
; %bb.1274:
	v_mov_b32_e32 v1, 43
	v_cmp_gt_i16_sdwa s[4:5], s15, v1 src0_sel:BYTE_0 src1_sel:DWORD
	;; [unrolled: 5-line block ×3, first 2 shown]
	s_and_b64 vcc, exec, s[4:5]
	s_cbranch_vccz .LBB17_1284
; %bb.1276:
	v_mov_b32_e32 v1, 46
	v_cmp_eq_u16_sdwa s[4:5], s15, v1 src0_sel:BYTE_0 src1_sel:DWORD
	s_mov_b64 s[10:11], 0
	s_and_b64 vcc, exec, s[4:5]
	s_cbranch_vccz .LBB17_1287
; %bb.1277:
	global_load_dword v1, v[6:7], off
	s_mov_b64 s[4:5], 0
	s_mov_b64 s[8:9], -1
	s_waitcnt vmcnt(0)
	v_lshlrev_b32_e32 v41, 16, v1
	s_branch .LBB17_1288
.LBB17_1278:
	s_mov_b64 s[8:9], 0
                                        ; implicit-def: $vgpr41
	s_cbranch_execnz .LBB17_1353
.LBB17_1279:
	s_andn2_b64 vcc, exec, s[8:9]
	s_cbranch_vccnz .LBB17_2112
	s_branch .LBB17_1400
.LBB17_1280:
	s_mov_b64 s[8:9], 0
	s_mov_b64 s[4:5], 0
                                        ; implicit-def: $vgpr41
	s_cbranch_execnz .LBB17_1317
	s_branch .LBB17_1349
.LBB17_1281:
	s_mov_b64 s[10:11], -1
	s_mov_b64 s[8:9], 0
	s_mov_b64 s[4:5], 0
                                        ; implicit-def: $vgpr41
	s_branch .LBB17_1298
.LBB17_1282:
	s_mov_b64 s[10:11], -1
	s_mov_b64 s[8:9], 0
	s_mov_b64 s[4:5], 0
                                        ; implicit-def: $vgpr41
	s_branch .LBB17_1293
.LBB17_1283:
	s_or_b64 s[36:37], s[44:45], exec
	s_trap 2
                                        ; implicit-def: $vgpr0
	s_cbranch_execz .LBB17_1224
	s_branch .LBB17_1225
.LBB17_1284:
	s_mov_b64 s[10:11], -1
	s_mov_b64 s[8:9], 0
	s_mov_b64 s[4:5], 0
                                        ; implicit-def: $vgpr41
	s_branch .LBB17_1288
.LBB17_1285:
	s_or_saveexec_b64 s[12:13], s[12:13]
                                        ; implicit-def: $sgpr14
	s_xor_b64 exec, exec, s[12:13]
	s_cbranch_execz .LBB17_1015
.LBB17_1286:
	s_mov_b32 s14, 0x42800000
	v_add_f32_e64 v1, |v0|, s14
	v_and_b32_e32 v1, 0xff, v1
	v_cmp_ne_u32_e32 vcc, 0, v1
	s_andn2_b64 s[10:11], s[10:11], exec
	s_and_b64 s[16:17], vcc, exec
	s_mov_b32 s14, 0
	s_or_b64 s[10:11], s[10:11], s[16:17]
	s_or_b64 exec, exec, s[12:13]
	v_mov_b32_e32 v5, s14
	s_and_saveexec_b64 s[12:13], s[10:11]
	s_cbranch_execnz .LBB17_1016
	s_branch .LBB17_1017
.LBB17_1287:
	s_mov_b64 s[4:5], -1
                                        ; implicit-def: $vgpr41
	s_mov_b64 s[8:9], 0
.LBB17_1288:
	s_and_b64 vcc, exec, s[10:11]
	s_cbranch_vccz .LBB17_1292
; %bb.1289:
	v_mov_b32_e32 v1, 44
	v_cmp_eq_u16_sdwa s[4:5], s15, v1 src0_sel:BYTE_0 src1_sel:DWORD
	s_and_b64 vcc, exec, s[4:5]
	s_cbranch_vccz .LBB17_1291
; %bb.1290:
	global_load_ubyte v1, v[6:7], off
	s_movk_i32 s8, 0xff
	v_mov_b32_e32 v3, 0x7f800001
	v_mov_b32_e32 v5, 0x400000
	s_mov_b64 s[4:5], 0
	s_waitcnt vmcnt(0)
	v_lshlrev_b32_e32 v8, 23, v1
	v_cmp_ne_u32_e32 vcc, s8, v1
	v_cndmask_b32_e32 v3, v3, v8, vcc
	v_cmp_ne_u32_e32 vcc, 0, v1
	v_cndmask_b32_e32 v41, v5, v3, vcc
	s_mov_b64 s[8:9], -1
	s_branch .LBB17_1292
.LBB17_1291:
	s_mov_b64 s[4:5], -1
                                        ; implicit-def: $vgpr41
.LBB17_1292:
	s_mov_b64 s[10:11], 0
.LBB17_1293:
	s_and_b64 vcc, exec, s[10:11]
	s_cbranch_vccz .LBB17_1297
; %bb.1294:
	v_mov_b32_e32 v1, 29
	v_cmp_eq_u16_sdwa s[4:5], s15, v1 src0_sel:BYTE_0 src1_sel:DWORD
	s_and_b64 vcc, exec, s[4:5]
	s_cbranch_vccz .LBB17_1296
; %bb.1295:
	global_load_dwordx2 v[8:9], v[6:7], off
	s_mov_b64 s[4:5], 0
	s_mov_b64 s[8:9], -1
	s_mov_b64 s[10:11], 0
	s_waitcnt vmcnt(0)
	v_ffbh_u32_e32 v1, v9
	v_min_u32_e32 v1, 32, v1
	v_lshlrev_b64 v[8:9], v1, v[8:9]
	v_min_u32_e32 v3, 1, v8
	v_or_b32_e32 v3, v9, v3
	v_cvt_f32_u32_e32 v3, v3
	v_sub_u32_e32 v1, 32, v1
	v_ldexp_f32 v41, v3, v1
	s_branch .LBB17_1298
.LBB17_1296:
	s_mov_b64 s[4:5], -1
                                        ; implicit-def: $vgpr41
.LBB17_1297:
	s_mov_b64 s[10:11], 0
.LBB17_1298:
	s_and_b64 vcc, exec, s[10:11]
	s_cbranch_vccz .LBB17_1316
; %bb.1299:
	v_mov_b32_e32 v1, 27
	v_cmp_lt_i16_sdwa s[8:9], s15, v1 src0_sel:BYTE_0 src1_sel:DWORD
	s_and_b64 vcc, exec, s[8:9]
	s_cbranch_vccnz .LBB17_1302
; %bb.1300:
	v_cmp_gt_i16_sdwa s[8:9], s15, v1 src0_sel:BYTE_0 src1_sel:DWORD
	s_and_b64 vcc, exec, s[8:9]
	s_cbranch_vccz .LBB17_1303
; %bb.1301:
	global_load_dword v1, v[6:7], off
	s_mov_b64 s[8:9], 0
	s_waitcnt vmcnt(0)
	v_cvt_f32_u32_e32 v41, v1
	s_branch .LBB17_1304
.LBB17_1302:
	s_mov_b64 s[8:9], -1
                                        ; implicit-def: $vgpr41
	s_branch .LBB17_1307
.LBB17_1303:
	s_mov_b64 s[8:9], -1
                                        ; implicit-def: $vgpr41
.LBB17_1304:
	s_andn2_b64 vcc, exec, s[8:9]
	s_cbranch_vccnz .LBB17_1306
; %bb.1305:
	global_load_ushort v1, v[6:7], off
	s_waitcnt vmcnt(0)
	v_cvt_f32_u32_e32 v41, v1
.LBB17_1306:
	s_mov_b64 s[8:9], 0
.LBB17_1307:
	s_andn2_b64 vcc, exec, s[8:9]
	s_cbranch_vccnz .LBB17_1315
; %bb.1308:
	global_load_ubyte v1, v[6:7], off
	s_movk_i32 s8, 0x7f
                                        ; implicit-def: $sgpr16
	s_waitcnt vmcnt(0)
	v_cmp_lt_i16_e32 vcc, s8, v1
	s_mov_b64 s[8:9], 0
	s_and_saveexec_b64 s[10:11], vcc
	s_xor_b64 s[10:11], exec, s[10:11]
	s_cbranch_execz .LBB17_1328
; %bb.1309:
	s_movk_i32 s8, 0x80
	v_cmp_eq_u16_e32 vcc, s8, v1
	s_mov_b64 s[8:9], -1
                                        ; implicit-def: $sgpr16
	s_and_saveexec_b64 s[12:13], vcc
; %bb.1310:
	s_mov_b32 s16, 0x7f800001
	s_xor_b64 s[8:9], exec, -1
; %bb.1311:
	s_or_b64 exec, exec, s[12:13]
	s_and_b64 s[8:9], s[8:9], exec
	s_or_saveexec_b64 s[10:11], s[10:11]
	v_mov_b32_e32 v41, s16
	s_xor_b64 exec, exec, s[10:11]
	s_cbranch_execnz .LBB17_1329
.LBB17_1312:
	s_or_b64 exec, exec, s[10:11]
	s_and_saveexec_b64 s[10:11], s[8:9]
	s_cbranch_execz .LBB17_1314
.LBB17_1313:
	v_lshlrev_b32_e32 v3, 24, v1
	v_and_b32_e32 v1, 0xffff, v1
	v_and_b32_e32 v5, 7, v1
	v_ffbh_u32_e32 v9, v5
	v_min_u32_e32 v9, 32, v9
	v_subrev_u32_e32 v10, 28, v9
	v_bfe_u32 v8, v1, 3, 4
	v_lshlrev_b32_e32 v1, v10, v1
	v_sub_u32_e32 v9, 29, v9
	v_and_b32_e32 v1, 7, v1
	v_cmp_eq_u32_e32 vcc, 0, v8
	v_cndmask_b32_e32 v8, v8, v9, vcc
	v_cndmask_b32_e32 v1, v5, v1, vcc
	v_mov_b32_e32 v5, 0x3b800000
	v_lshlrev_b32_e32 v1, 20, v1
	v_and_b32_e32 v3, 0x80000000, v3
	v_lshl_add_u32 v5, v8, 23, v5
	v_or3_b32 v41, v3, v5, v1
.LBB17_1314:
	s_or_b64 exec, exec, s[10:11]
.LBB17_1315:
	s_mov_b64 s[8:9], -1
.LBB17_1316:
	s_branch .LBB17_1349
.LBB17_1317:
	v_mov_b32_e32 v1, 22
	v_cmp_gt_i16_sdwa s[6:7], s15, v1 src0_sel:BYTE_0 src1_sel:DWORD
	s_and_b64 vcc, exec, s[6:7]
	s_cbranch_vccz .LBB17_1327
; %bb.1318:
	v_mov_b32_e32 v1, 24
	v_cmp_lt_i16_sdwa s[6:7], s15, v1 src0_sel:BYTE_0 src1_sel:DWORD
	s_and_b64 vcc, exec, s[6:7]
	s_cbranch_vccnz .LBB17_1330
; %bb.1319:
	v_cmp_gt_i16_sdwa s[6:7], s15, v1 src0_sel:BYTE_0 src1_sel:DWORD
	s_and_b64 vcc, exec, s[6:7]
	s_cbranch_vccz .LBB17_1331
; %bb.1320:
	global_load_ubyte v1, v[6:7], off
	s_movk_i32 s6, 0x7f
                                        ; implicit-def: $sgpr12
	s_waitcnt vmcnt(0)
	v_cmp_lt_i16_e32 vcc, s6, v1
	s_mov_b64 s[6:7], 0
	s_and_saveexec_b64 s[8:9], vcc
	s_xor_b64 s[8:9], exec, s[8:9]
	s_cbranch_execz .LBB17_1343
; %bb.1321:
	s_movk_i32 s6, 0x80
	v_cmp_eq_u16_e32 vcc, s6, v1
	s_mov_b64 s[6:7], -1
                                        ; implicit-def: $sgpr12
	s_and_saveexec_b64 s[10:11], vcc
; %bb.1322:
	s_mov_b32 s12, 0x7f800001
	s_xor_b64 s[6:7], exec, -1
; %bb.1323:
	s_or_b64 exec, exec, s[10:11]
	s_and_b64 s[6:7], s[6:7], exec
	s_or_saveexec_b64 s[8:9], s[8:9]
	v_mov_b32_e32 v41, s12
	s_xor_b64 exec, exec, s[8:9]
	s_cbranch_execnz .LBB17_1344
.LBB17_1324:
	s_or_b64 exec, exec, s[8:9]
	s_and_saveexec_b64 s[8:9], s[6:7]
	s_cbranch_execz .LBB17_1326
.LBB17_1325:
	v_lshlrev_b32_e32 v3, 24, v1
	v_and_b32_e32 v1, 0xffff, v1
	v_and_b32_e32 v5, 3, v1
	v_ffbh_u32_e32 v9, v5
	v_min_u32_e32 v9, 32, v9
	v_subrev_u32_e32 v10, 29, v9
	v_bfe_u32 v8, v1, 2, 5
	v_lshlrev_b32_e32 v1, v10, v1
	v_sub_u32_e32 v9, 30, v9
	v_and_b32_e32 v1, 3, v1
	v_cmp_eq_u32_e32 vcc, 0, v8
	v_cndmask_b32_e32 v8, v8, v9, vcc
	v_cndmask_b32_e32 v1, v5, v1, vcc
	v_mov_b32_e32 v5, 0x37800000
	v_lshlrev_b32_e32 v1, 21, v1
	v_and_b32_e32 v3, 0x80000000, v3
	v_lshl_add_u32 v5, v8, 23, v5
	v_or3_b32 v41, v3, v5, v1
.LBB17_1326:
	s_or_b64 exec, exec, s[8:9]
	s_mov_b64 s[6:7], 0
	s_branch .LBB17_1332
.LBB17_1327:
	s_mov_b64 s[6:7], -1
                                        ; implicit-def: $vgpr41
	s_branch .LBB17_1338
.LBB17_1328:
	s_or_saveexec_b64 s[10:11], s[10:11]
	v_mov_b32_e32 v41, s16
	s_xor_b64 exec, exec, s[10:11]
	s_cbranch_execz .LBB17_1312
.LBB17_1329:
	v_cmp_ne_u16_e32 vcc, 0, v1
	s_andn2_b64 s[8:9], s[8:9], exec
	s_and_b64 s[12:13], vcc, exec
	v_mov_b32_e32 v41, 0
	s_or_b64 s[8:9], s[8:9], s[12:13]
	s_or_b64 exec, exec, s[10:11]
	s_and_saveexec_b64 s[10:11], s[8:9]
	s_cbranch_execnz .LBB17_1313
	s_branch .LBB17_1314
.LBB17_1330:
	s_mov_b64 s[6:7], -1
                                        ; implicit-def: $vgpr41
	s_branch .LBB17_1335
.LBB17_1331:
	s_mov_b64 s[6:7], -1
                                        ; implicit-def: $vgpr41
.LBB17_1332:
	s_and_b64 vcc, exec, s[6:7]
	s_cbranch_vccz .LBB17_1334
; %bb.1333:
	global_load_ubyte v1, v[6:7], off
	s_mov_b32 s6, 0x7f800000
	s_waitcnt vmcnt(0)
	v_lshlrev_b32_e32 v1, 24, v1
	v_and_b32_e32 v3, 0x7f000000, v1
	v_ffbh_u32_e32 v5, v3
	v_min_u32_e32 v5, 32, v5
	v_sub_u32_e64 v5, v5, 4 clamp
	v_lshlrev_b32_e32 v9, v5, v3
	v_lshlrev_b32_e32 v5, 23, v5
	v_lshrrev_b32_e32 v9, 4, v9
	v_add_u32_e32 v8, 0x1000000, v3
	v_sub_u32_e32 v5, v9, v5
	v_ashrrev_i32_e32 v8, 8, v8
	v_add_u32_e32 v5, 0x3c000000, v5
	v_and_or_b32 v5, v8, s6, v5
	v_cmp_ne_u32_e32 vcc, 0, v3
	v_cndmask_b32_e32 v3, 0, v5, vcc
	s_brev_b32 s6, 1
	v_and_or_b32 v41, v1, s6, v3
.LBB17_1334:
	s_mov_b64 s[6:7], 0
.LBB17_1335:
	s_andn2_b64 vcc, exec, s[6:7]
	s_cbranch_vccnz .LBB17_1337
; %bb.1336:
	global_load_ubyte v1, v[6:7], off
	s_movk_i32 s6, 0x7f00
	s_brev_b32 s7, 16
	s_waitcnt vmcnt(0)
	v_lshlrev_b16_e32 v3, 8, v1
	v_lshlrev_b32_e32 v1, 25, v1
	v_lshrrev_b32_e32 v5, 4, v1
	v_and_or_b32 v8, v3, s6, 0.5
	v_or_b32_e32 v5, 0x70000000, v5
	v_add_f32_e32 v8, -0.5, v8
	v_mul_f32_e32 v5, 0x7800000, v5
	v_cmp_gt_u32_e32 vcc, s7, v1
	v_bfe_i32 v3, v3, 0, 16
	v_cndmask_b32_e32 v1, v5, v8, vcc
	s_brev_b32 s6, 1
	v_and_or_b32 v41, v3, s6, v1
.LBB17_1337:
	s_mov_b64 s[6:7], 0
	s_mov_b64 s[8:9], -1
.LBB17_1338:
	s_andn2_b64 vcc, exec, s[6:7]
	s_mov_b64 s[6:7], 0
	s_cbranch_vccnz .LBB17_1349
; %bb.1339:
	v_mov_b32_e32 v1, 14
	v_cmp_gt_i16_sdwa s[6:7], s15, v1 src0_sel:BYTE_0 src1_sel:DWORD
	s_and_b64 vcc, exec, s[6:7]
	s_cbranch_vccz .LBB17_1342
; %bb.1340:
	v_mov_b32_e32 v1, 15
	v_cmp_eq_u16_sdwa s[4:5], s15, v1 src0_sel:BYTE_0 src1_sel:DWORD
	s_and_b64 vcc, exec, s[4:5]
	s_cbranch_vccz .LBB17_1345
; %bb.1341:
	global_load_ushort v1, v[6:7], off
	s_mov_b64 s[4:5], 0
	s_mov_b64 s[8:9], -1
	s_waitcnt vmcnt(0)
	v_lshlrev_b32_e32 v41, 16, v1
	s_branch .LBB17_1346
.LBB17_1342:
	s_mov_b64 s[10:11], -1
                                        ; implicit-def: $vgpr41
	s_branch .LBB17_1347
.LBB17_1343:
	s_or_saveexec_b64 s[8:9], s[8:9]
	v_mov_b32_e32 v41, s12
	s_xor_b64 exec, exec, s[8:9]
	s_cbranch_execz .LBB17_1324
.LBB17_1344:
	v_cmp_ne_u16_e32 vcc, 0, v1
	s_andn2_b64 s[6:7], s[6:7], exec
	s_and_b64 s[10:11], vcc, exec
	v_mov_b32_e32 v41, 0
	s_or_b64 s[6:7], s[6:7], s[10:11]
	s_or_b64 exec, exec, s[8:9]
	s_and_saveexec_b64 s[8:9], s[6:7]
	s_cbranch_execnz .LBB17_1325
	s_branch .LBB17_1326
.LBB17_1345:
	s_mov_b64 s[4:5], -1
                                        ; implicit-def: $vgpr41
.LBB17_1346:
	s_mov_b64 s[10:11], 0
.LBB17_1347:
	s_mov_b64 s[6:7], 0
	s_and_b64 vcc, exec, s[10:11]
	s_cbranch_vccz .LBB17_1349
; %bb.1348:
	v_mov_b32_e32 v1, 11
	v_cmp_ne_u16_sdwa s[4:5], s15, v1 src0_sel:BYTE_0 src1_sel:DWORD
	s_mov_b64 s[6:7], -1
                                        ; implicit-def: $vgpr41
.LBB17_1349:
	s_and_b64 vcc, exec, s[4:5]
	s_cbranch_vccnz .LBB17_1412
; %bb.1350:
	s_andn2_b64 vcc, exec, s[6:7]
	s_cbranch_vccnz .LBB17_1352
.LBB17_1351:
	global_load_ubyte v1, v[6:7], off
	s_mov_b64 s[8:9], -1
	s_waitcnt vmcnt(0)
	v_cmp_ne_u16_e32 vcc, 0, v1
	v_cndmask_b32_e64 v41, 0, 1.0, vcc
.LBB17_1352:
	s_branch .LBB17_1279
.LBB17_1353:
	v_mov_b32_e32 v1, 5
	v_cmp_lt_i16_sdwa s[4:5], s15, v1 src0_sel:BYTE_0 src1_sel:DWORD
	s_and_b64 vcc, exec, s[4:5]
	s_cbranch_vccnz .LBB17_1358
; %bb.1354:
	v_mov_b32_e32 v1, 8
	v_cmp_lt_i16_sdwa s[4:5], s15, v1 src0_sel:BYTE_0 src1_sel:DWORD
	s_and_b64 vcc, exec, s[4:5]
	s_cbranch_vccnz .LBB17_1359
; %bb.1355:
	;; [unrolled: 5-line block ×3, first 2 shown]
	v_cmp_gt_i16_sdwa s[4:5], s15, v1 src0_sel:BYTE_0 src1_sel:DWORD
	s_and_b64 vcc, exec, s[4:5]
	s_cbranch_vccz .LBB17_1361
; %bb.1357:
	global_load_dwordx2 v[8:9], v[6:7], off
	s_mov_b64 s[4:5], 0
	s_waitcnt vmcnt(0)
	v_cvt_f32_f64_e32 v41, v[8:9]
	s_branch .LBB17_1362
.LBB17_1358:
                                        ; implicit-def: $vgpr41
	s_branch .LBB17_1380
.LBB17_1359:
	s_mov_b64 s[4:5], -1
                                        ; implicit-def: $vgpr41
	s_branch .LBB17_1368
.LBB17_1360:
	s_mov_b64 s[4:5], -1
                                        ; implicit-def: $vgpr41
	s_branch .LBB17_1365
.LBB17_1361:
	s_mov_b64 s[4:5], -1
                                        ; implicit-def: $vgpr41
.LBB17_1362:
	s_andn2_b64 vcc, exec, s[4:5]
	s_cbranch_vccnz .LBB17_1364
; %bb.1363:
	global_load_dword v41, v[6:7], off
.LBB17_1364:
	s_mov_b64 s[4:5], 0
.LBB17_1365:
	s_andn2_b64 vcc, exec, s[4:5]
	s_cbranch_vccnz .LBB17_1367
; %bb.1366:
	global_load_dword v1, v[6:7], off
	s_waitcnt vmcnt(0)
	v_cvt_f32_f16_e32 v41, v1
.LBB17_1367:
	s_mov_b64 s[4:5], 0
.LBB17_1368:
	s_andn2_b64 vcc, exec, s[4:5]
	s_cbranch_vccnz .LBB17_1379
; %bb.1369:
	v_mov_b32_e32 v1, 6
	v_cmp_lt_i16_sdwa s[4:5], s15, v1 src0_sel:BYTE_0 src1_sel:DWORD
	s_and_b64 vcc, exec, s[4:5]
	s_cbranch_vccnz .LBB17_1372
; %bb.1370:
	v_cmp_gt_i16_sdwa s[4:5], s15, v1 src0_sel:BYTE_0 src1_sel:DWORD
	s_and_b64 vcc, exec, s[4:5]
	s_cbranch_vccz .LBB17_1373
; %bb.1371:
	global_load_dwordx2 v[8:9], v[6:7], off
	s_mov_b64 s[4:5], 0
	s_waitcnt vmcnt(0)
	v_cvt_f32_f64_e32 v41, v[8:9]
	s_branch .LBB17_1374
.LBB17_1372:
	s_mov_b64 s[4:5], -1
                                        ; implicit-def: $vgpr41
	s_branch .LBB17_1377
.LBB17_1373:
	s_mov_b64 s[4:5], -1
                                        ; implicit-def: $vgpr41
.LBB17_1374:
	s_andn2_b64 vcc, exec, s[4:5]
	s_cbranch_vccnz .LBB17_1376
; %bb.1375:
	global_load_dword v41, v[6:7], off
.LBB17_1376:
	s_mov_b64 s[4:5], 0
.LBB17_1377:
	s_andn2_b64 vcc, exec, s[4:5]
	s_cbranch_vccnz .LBB17_1379
; %bb.1378:
	global_load_ushort v1, v[6:7], off
	s_waitcnt vmcnt(0)
	v_cvt_f32_f16_e32 v41, v1
.LBB17_1379:
	s_cbranch_execnz .LBB17_1399
.LBB17_1380:
	v_mov_b32_e32 v1, 2
	v_cmp_lt_i16_sdwa s[4:5], s15, v1 src0_sel:BYTE_0 src1_sel:DWORD
	s_and_b64 vcc, exec, s[4:5]
	s_cbranch_vccnz .LBB17_1384
; %bb.1381:
	v_mov_b32_e32 v1, 3
	v_cmp_lt_i16_sdwa s[4:5], s15, v1 src0_sel:BYTE_0 src1_sel:DWORD
	s_and_b64 vcc, exec, s[4:5]
	s_cbranch_vccnz .LBB17_1385
; %bb.1382:
	v_cmp_gt_i16_sdwa s[4:5], s15, v1 src0_sel:BYTE_0 src1_sel:DWORD
	s_and_b64 vcc, exec, s[4:5]
	s_cbranch_vccz .LBB17_1386
; %bb.1383:
	global_load_dwordx2 v[8:9], v[6:7], off
	s_mov_b64 s[4:5], 0
	s_waitcnt vmcnt(0)
	v_xor_b32_e32 v3, v8, v9
	v_ffbh_i32_e32 v1, v9
	v_ashrrev_i32_e32 v3, 31, v3
	v_add_u32_e32 v1, -1, v1
	v_add_u32_e32 v3, 32, v3
	v_min_u32_e32 v1, v1, v3
	v_lshlrev_b64 v[8:9], v1, v[8:9]
	v_min_u32_e32 v3, 1, v8
	v_or_b32_e32 v3, v9, v3
	v_cvt_f32_i32_e32 v3, v3
	v_sub_u32_e32 v1, 32, v1
	v_ldexp_f32 v41, v3, v1
	s_branch .LBB17_1387
.LBB17_1384:
	s_mov_b64 s[4:5], -1
                                        ; implicit-def: $vgpr41
	s_branch .LBB17_1393
.LBB17_1385:
	s_mov_b64 s[4:5], -1
                                        ; implicit-def: $vgpr41
	s_branch .LBB17_1390
.LBB17_1386:
	s_mov_b64 s[4:5], -1
                                        ; implicit-def: $vgpr41
.LBB17_1387:
	s_andn2_b64 vcc, exec, s[4:5]
	s_cbranch_vccnz .LBB17_1389
; %bb.1388:
	global_load_dword v1, v[6:7], off
	s_waitcnt vmcnt(0)
	v_cvt_f32_i32_e32 v41, v1
.LBB17_1389:
	s_mov_b64 s[4:5], 0
.LBB17_1390:
	s_andn2_b64 vcc, exec, s[4:5]
	s_cbranch_vccnz .LBB17_1392
; %bb.1391:
	global_load_sshort v1, v[6:7], off
	s_waitcnt vmcnt(0)
	v_cvt_f32_i32_e32 v41, v1
.LBB17_1392:
	s_mov_b64 s[4:5], 0
.LBB17_1393:
	s_andn2_b64 vcc, exec, s[4:5]
	s_cbranch_vccnz .LBB17_1399
; %bb.1394:
	v_mov_b32_e32 v1, 0
	v_cmp_gt_i16_sdwa s[4:5], s15, v1 src0_sel:BYTE_0 src1_sel:DWORD
	s_and_b64 vcc, exec, s[4:5]
	s_cbranch_vccz .LBB17_1396
; %bb.1395:
	global_load_sbyte v1, v[6:7], off
	s_mov_b64 s[4:5], 0
	s_waitcnt vmcnt(0)
	v_cvt_f32_i32_e32 v41, v1
	s_branch .LBB17_1397
.LBB17_1396:
	s_mov_b64 s[4:5], -1
                                        ; implicit-def: $vgpr41
.LBB17_1397:
	s_andn2_b64 vcc, exec, s[4:5]
	s_cbranch_vccnz .LBB17_1399
; %bb.1398:
	global_load_ubyte v1, v[6:7], off
	s_waitcnt vmcnt(0)
	v_cvt_f32_ubyte0_e32 v41, v1
.LBB17_1399:
.LBB17_1400:
	v_mov_b32_e32 v1, s43
	v_add_co_u32_e32 v4, vcc, s42, v4
	v_addc_co_u32_e32 v5, vcc, 0, v1, vcc
	v_mov_b32_e32 v1, 11
	v_cmp_lt_i16_sdwa s[4:5], s15, v1 src0_sel:BYTE_0 src1_sel:DWORD
	s_and_b64 vcc, exec, s[4:5]
	s_cbranch_vccnz .LBB17_1407
; %bb.1401:
	v_mov_b32_e32 v1, 25
	v_cmp_gt_i16_sdwa s[4:5], s15, v1 src0_sel:BYTE_0 src1_sel:DWORD
	s_mov_b64 s[6:7], 0
	s_and_b64 vcc, exec, s[4:5]
	s_cbranch_vccz .LBB17_1409
; %bb.1402:
	v_mov_b32_e32 v1, 28
	v_cmp_gt_i16_sdwa s[4:5], s15, v1 src0_sel:BYTE_0 src1_sel:DWORD
	s_and_b64 vcc, exec, s[4:5]
	s_cbranch_vccz .LBB17_1410
; %bb.1403:
	v_mov_b32_e32 v1, 43
	v_cmp_gt_i16_sdwa s[4:5], s15, v1 src0_sel:BYTE_0 src1_sel:DWORD
	;; [unrolled: 5-line block ×3, first 2 shown]
	s_and_b64 vcc, exec, s[4:5]
	s_cbranch_vccz .LBB17_1413
; %bb.1405:
	v_mov_b32_e32 v1, 46
	v_cmp_eq_u16_sdwa s[4:5], s15, v1 src0_sel:BYTE_0 src1_sel:DWORD
	s_mov_b64 s[10:11], 0
	s_and_b64 vcc, exec, s[4:5]
	s_cbranch_vccz .LBB17_1414
; %bb.1406:
	global_load_dword v1, v[4:5], off
	s_mov_b64 s[4:5], 0
	s_mov_b64 s[8:9], -1
	s_waitcnt vmcnt(0)
	v_lshlrev_b32_e32 v42, 16, v1
	s_branch .LBB17_1415
.LBB17_1407:
	s_mov_b64 s[8:9], 0
                                        ; implicit-def: $vgpr42
	s_cbranch_execnz .LBB17_1481
.LBB17_1408:
	s_andn2_b64 vcc, exec, s[8:9]
	s_cbranch_vccnz .LBB17_2112
	s_branch .LBB17_1529
.LBB17_1409:
	s_mov_b64 s[10:11], -1
	s_mov_b64 s[8:9], 0
	s_mov_b64 s[4:5], 0
                                        ; implicit-def: $vgpr42
	s_branch .LBB17_1444
.LBB17_1410:
	s_mov_b64 s[10:11], -1
	s_mov_b64 s[8:9], 0
	s_mov_b64 s[4:5], 0
                                        ; implicit-def: $vgpr42
	s_branch .LBB17_1425
.LBB17_1411:
	s_mov_b64 s[10:11], -1
	s_mov_b64 s[8:9], 0
	s_mov_b64 s[4:5], 0
                                        ; implicit-def: $vgpr42
	s_branch .LBB17_1420
.LBB17_1412:
	s_trap 2
	s_or_b64 s[36:37], s[36:37], exec
                                        ; implicit-def: $vgpr41
	s_cbranch_execz .LBB17_1351
	s_branch .LBB17_1352
.LBB17_1413:
	s_mov_b64 s[10:11], -1
	s_mov_b64 s[8:9], 0
	s_mov_b64 s[4:5], 0
                                        ; implicit-def: $vgpr42
	s_branch .LBB17_1415
.LBB17_1414:
	s_mov_b64 s[4:5], -1
                                        ; implicit-def: $vgpr42
	s_mov_b64 s[8:9], 0
.LBB17_1415:
	s_and_b64 vcc, exec, s[10:11]
	s_cbranch_vccz .LBB17_1419
; %bb.1416:
	v_mov_b32_e32 v1, 44
	v_cmp_eq_u16_sdwa s[4:5], s15, v1 src0_sel:BYTE_0 src1_sel:DWORD
	s_and_b64 vcc, exec, s[4:5]
	s_cbranch_vccz .LBB17_1418
; %bb.1417:
	global_load_ubyte v1, v[4:5], off
	s_movk_i32 s8, 0xff
	v_mov_b32_e32 v3, 0x7f800001
	v_mov_b32_e32 v6, 0x400000
	s_mov_b64 s[4:5], 0
	s_waitcnt vmcnt(0)
	v_lshlrev_b32_e32 v7, 23, v1
	v_cmp_ne_u32_e32 vcc, s8, v1
	v_cndmask_b32_e32 v3, v3, v7, vcc
	v_cmp_ne_u32_e32 vcc, 0, v1
	v_cndmask_b32_e32 v42, v6, v3, vcc
	s_mov_b64 s[8:9], -1
	s_branch .LBB17_1419
.LBB17_1418:
	s_mov_b64 s[4:5], -1
                                        ; implicit-def: $vgpr42
.LBB17_1419:
	s_mov_b64 s[10:11], 0
.LBB17_1420:
	s_and_b64 vcc, exec, s[10:11]
	s_cbranch_vccz .LBB17_1424
; %bb.1421:
	v_mov_b32_e32 v1, 29
	v_cmp_eq_u16_sdwa s[4:5], s15, v1 src0_sel:BYTE_0 src1_sel:DWORD
	s_and_b64 vcc, exec, s[4:5]
	s_cbranch_vccz .LBB17_1423
; %bb.1422:
	global_load_dwordx2 v[6:7], v[4:5], off
	s_mov_b64 s[4:5], 0
	s_mov_b64 s[8:9], -1
	s_mov_b64 s[10:11], 0
	s_waitcnt vmcnt(0)
	v_ffbh_u32_e32 v1, v7
	v_min_u32_e32 v1, 32, v1
	v_lshlrev_b64 v[6:7], v1, v[6:7]
	v_min_u32_e32 v3, 1, v6
	v_or_b32_e32 v3, v7, v3
	v_cvt_f32_u32_e32 v3, v3
	v_sub_u32_e32 v1, 32, v1
	v_ldexp_f32 v42, v3, v1
	s_branch .LBB17_1425
.LBB17_1423:
	s_mov_b64 s[4:5], -1
                                        ; implicit-def: $vgpr42
.LBB17_1424:
	s_mov_b64 s[10:11], 0
.LBB17_1425:
	s_and_b64 vcc, exec, s[10:11]
	s_cbranch_vccz .LBB17_1443
; %bb.1426:
	v_mov_b32_e32 v1, 27
	v_cmp_lt_i16_sdwa s[8:9], s15, v1 src0_sel:BYTE_0 src1_sel:DWORD
	s_and_b64 vcc, exec, s[8:9]
	s_cbranch_vccnz .LBB17_1429
; %bb.1427:
	v_cmp_gt_i16_sdwa s[8:9], s15, v1 src0_sel:BYTE_0 src1_sel:DWORD
	s_and_b64 vcc, exec, s[8:9]
	s_cbranch_vccz .LBB17_1430
; %bb.1428:
	global_load_dword v1, v[4:5], off
	s_mov_b64 s[8:9], 0
	s_waitcnt vmcnt(0)
	v_cvt_f32_u32_e32 v42, v1
	s_branch .LBB17_1431
.LBB17_1429:
	s_mov_b64 s[8:9], -1
                                        ; implicit-def: $vgpr42
	s_branch .LBB17_1434
.LBB17_1430:
	s_mov_b64 s[8:9], -1
                                        ; implicit-def: $vgpr42
.LBB17_1431:
	s_andn2_b64 vcc, exec, s[8:9]
	s_cbranch_vccnz .LBB17_1433
; %bb.1432:
	global_load_ushort v1, v[4:5], off
	s_waitcnt vmcnt(0)
	v_cvt_f32_u32_e32 v42, v1
.LBB17_1433:
	s_mov_b64 s[8:9], 0
.LBB17_1434:
	s_andn2_b64 vcc, exec, s[8:9]
	s_cbranch_vccnz .LBB17_1442
; %bb.1435:
	global_load_ubyte v1, v[4:5], off
	s_movk_i32 s8, 0x7f
                                        ; implicit-def: $sgpr16
	s_waitcnt vmcnt(0)
	v_cmp_lt_i16_e32 vcc, s8, v1
	s_mov_b64 s[8:9], 0
	s_and_saveexec_b64 s[10:11], vcc
	s_xor_b64 s[10:11], exec, s[10:11]
	s_cbranch_execz .LBB17_1456
; %bb.1436:
	s_movk_i32 s8, 0x80
	v_cmp_eq_u16_e32 vcc, s8, v1
	s_mov_b64 s[8:9], -1
                                        ; implicit-def: $sgpr16
	s_and_saveexec_b64 s[12:13], vcc
; %bb.1437:
	s_mov_b32 s16, 0x7f800001
	s_xor_b64 s[8:9], exec, -1
; %bb.1438:
	s_or_b64 exec, exec, s[12:13]
	s_and_b64 s[8:9], s[8:9], exec
	s_or_saveexec_b64 s[10:11], s[10:11]
	v_mov_b32_e32 v42, s16
	s_xor_b64 exec, exec, s[10:11]
	s_cbranch_execnz .LBB17_1457
.LBB17_1439:
	s_or_b64 exec, exec, s[10:11]
	s_and_saveexec_b64 s[10:11], s[8:9]
	s_cbranch_execz .LBB17_1441
.LBB17_1440:
	v_lshlrev_b32_e32 v3, 24, v1
	v_and_b32_e32 v1, 0xffff, v1
	v_and_b32_e32 v6, 7, v1
	v_ffbh_u32_e32 v8, v6
	v_min_u32_e32 v8, 32, v8
	v_subrev_u32_e32 v9, 28, v8
	v_bfe_u32 v7, v1, 3, 4
	v_lshlrev_b32_e32 v1, v9, v1
	v_sub_u32_e32 v8, 29, v8
	v_and_b32_e32 v1, 7, v1
	v_cmp_eq_u32_e32 vcc, 0, v7
	v_cndmask_b32_e32 v7, v7, v8, vcc
	v_cndmask_b32_e32 v1, v6, v1, vcc
	v_mov_b32_e32 v6, 0x3b800000
	v_lshlrev_b32_e32 v1, 20, v1
	v_and_b32_e32 v3, 0x80000000, v3
	v_lshl_add_u32 v6, v7, 23, v6
	v_or3_b32 v42, v3, v6, v1
.LBB17_1441:
	s_or_b64 exec, exec, s[10:11]
.LBB17_1442:
	s_mov_b64 s[8:9], -1
.LBB17_1443:
	s_mov_b64 s[10:11], 0
.LBB17_1444:
	s_and_b64 vcc, exec, s[10:11]
	s_cbranch_vccz .LBB17_1477
; %bb.1445:
	v_mov_b32_e32 v1, 22
	v_cmp_gt_i16_sdwa s[6:7], s15, v1 src0_sel:BYTE_0 src1_sel:DWORD
	s_and_b64 vcc, exec, s[6:7]
	s_cbranch_vccz .LBB17_1455
; %bb.1446:
	v_mov_b32_e32 v1, 24
	v_cmp_lt_i16_sdwa s[6:7], s15, v1 src0_sel:BYTE_0 src1_sel:DWORD
	s_and_b64 vcc, exec, s[6:7]
	s_cbranch_vccnz .LBB17_1458
; %bb.1447:
	v_cmp_gt_i16_sdwa s[6:7], s15, v1 src0_sel:BYTE_0 src1_sel:DWORD
	s_and_b64 vcc, exec, s[6:7]
	s_cbranch_vccz .LBB17_1459
; %bb.1448:
	global_load_ubyte v1, v[4:5], off
	s_movk_i32 s6, 0x7f
                                        ; implicit-def: $sgpr12
	s_waitcnt vmcnt(0)
	v_cmp_lt_i16_e32 vcc, s6, v1
	s_mov_b64 s[6:7], 0
	s_and_saveexec_b64 s[8:9], vcc
	s_xor_b64 s[8:9], exec, s[8:9]
	s_cbranch_execz .LBB17_1471
; %bb.1449:
	s_movk_i32 s6, 0x80
	v_cmp_eq_u16_e32 vcc, s6, v1
	s_mov_b64 s[6:7], -1
                                        ; implicit-def: $sgpr12
	s_and_saveexec_b64 s[10:11], vcc
; %bb.1450:
	s_mov_b32 s12, 0x7f800001
	s_xor_b64 s[6:7], exec, -1
; %bb.1451:
	s_or_b64 exec, exec, s[10:11]
	s_and_b64 s[6:7], s[6:7], exec
	s_or_saveexec_b64 s[8:9], s[8:9]
	v_mov_b32_e32 v42, s12
	s_xor_b64 exec, exec, s[8:9]
	s_cbranch_execnz .LBB17_1472
.LBB17_1452:
	s_or_b64 exec, exec, s[8:9]
	s_and_saveexec_b64 s[8:9], s[6:7]
	s_cbranch_execz .LBB17_1454
.LBB17_1453:
	v_lshlrev_b32_e32 v3, 24, v1
	v_and_b32_e32 v1, 0xffff, v1
	v_and_b32_e32 v6, 3, v1
	v_ffbh_u32_e32 v8, v6
	v_min_u32_e32 v8, 32, v8
	v_subrev_u32_e32 v9, 29, v8
	v_bfe_u32 v7, v1, 2, 5
	v_lshlrev_b32_e32 v1, v9, v1
	v_sub_u32_e32 v8, 30, v8
	v_and_b32_e32 v1, 3, v1
	v_cmp_eq_u32_e32 vcc, 0, v7
	v_cndmask_b32_e32 v7, v7, v8, vcc
	v_cndmask_b32_e32 v1, v6, v1, vcc
	v_mov_b32_e32 v6, 0x37800000
	v_lshlrev_b32_e32 v1, 21, v1
	v_and_b32_e32 v3, 0x80000000, v3
	v_lshl_add_u32 v6, v7, 23, v6
	v_or3_b32 v42, v3, v6, v1
.LBB17_1454:
	s_or_b64 exec, exec, s[8:9]
	s_mov_b64 s[6:7], 0
	s_branch .LBB17_1460
.LBB17_1455:
	s_mov_b64 s[6:7], -1
                                        ; implicit-def: $vgpr42
	s_branch .LBB17_1466
.LBB17_1456:
	s_or_saveexec_b64 s[10:11], s[10:11]
	v_mov_b32_e32 v42, s16
	s_xor_b64 exec, exec, s[10:11]
	s_cbranch_execz .LBB17_1439
.LBB17_1457:
	v_cmp_ne_u16_e32 vcc, 0, v1
	s_andn2_b64 s[8:9], s[8:9], exec
	s_and_b64 s[12:13], vcc, exec
	v_mov_b32_e32 v42, 0
	s_or_b64 s[8:9], s[8:9], s[12:13]
	s_or_b64 exec, exec, s[10:11]
	s_and_saveexec_b64 s[10:11], s[8:9]
	s_cbranch_execnz .LBB17_1440
	s_branch .LBB17_1441
.LBB17_1458:
	s_mov_b64 s[6:7], -1
                                        ; implicit-def: $vgpr42
	s_branch .LBB17_1463
.LBB17_1459:
	s_mov_b64 s[6:7], -1
                                        ; implicit-def: $vgpr42
.LBB17_1460:
	s_and_b64 vcc, exec, s[6:7]
	s_cbranch_vccz .LBB17_1462
; %bb.1461:
	global_load_ubyte v1, v[4:5], off
	s_mov_b32 s6, 0x7f800000
	s_waitcnt vmcnt(0)
	v_lshlrev_b32_e32 v1, 24, v1
	v_and_b32_e32 v3, 0x7f000000, v1
	v_ffbh_u32_e32 v6, v3
	v_min_u32_e32 v6, 32, v6
	v_sub_u32_e64 v6, v6, 4 clamp
	v_lshlrev_b32_e32 v8, v6, v3
	v_lshlrev_b32_e32 v6, 23, v6
	v_lshrrev_b32_e32 v8, 4, v8
	v_add_u32_e32 v7, 0x1000000, v3
	v_sub_u32_e32 v6, v8, v6
	v_ashrrev_i32_e32 v7, 8, v7
	v_add_u32_e32 v6, 0x3c000000, v6
	v_and_or_b32 v6, v7, s6, v6
	v_cmp_ne_u32_e32 vcc, 0, v3
	v_cndmask_b32_e32 v3, 0, v6, vcc
	s_brev_b32 s6, 1
	v_and_or_b32 v42, v1, s6, v3
.LBB17_1462:
	s_mov_b64 s[6:7], 0
.LBB17_1463:
	s_andn2_b64 vcc, exec, s[6:7]
	s_cbranch_vccnz .LBB17_1465
; %bb.1464:
	global_load_ubyte v1, v[4:5], off
	s_movk_i32 s6, 0x7f00
	s_brev_b32 s7, 16
	s_waitcnt vmcnt(0)
	v_lshlrev_b16_e32 v3, 8, v1
	v_lshlrev_b32_e32 v1, 25, v1
	v_lshrrev_b32_e32 v6, 4, v1
	v_and_or_b32 v7, v3, s6, 0.5
	v_or_b32_e32 v6, 0x70000000, v6
	v_add_f32_e32 v7, -0.5, v7
	v_mul_f32_e32 v6, 0x7800000, v6
	v_cmp_gt_u32_e32 vcc, s7, v1
	v_bfe_i32 v3, v3, 0, 16
	v_cndmask_b32_e32 v1, v6, v7, vcc
	s_brev_b32 s6, 1
	v_and_or_b32 v42, v3, s6, v1
.LBB17_1465:
	s_mov_b64 s[6:7], 0
	s_mov_b64 s[8:9], -1
.LBB17_1466:
	s_andn2_b64 vcc, exec, s[6:7]
	s_mov_b64 s[6:7], 0
	s_cbranch_vccnz .LBB17_1477
; %bb.1467:
	v_mov_b32_e32 v1, 14
	v_cmp_gt_i16_sdwa s[6:7], s15, v1 src0_sel:BYTE_0 src1_sel:DWORD
	s_and_b64 vcc, exec, s[6:7]
	s_cbranch_vccz .LBB17_1470
; %bb.1468:
	v_mov_b32_e32 v1, 15
	v_cmp_eq_u16_sdwa s[4:5], s15, v1 src0_sel:BYTE_0 src1_sel:DWORD
	s_and_b64 vcc, exec, s[4:5]
	s_cbranch_vccz .LBB17_1473
; %bb.1469:
	global_load_ushort v1, v[4:5], off
	s_mov_b64 s[4:5], 0
	s_mov_b64 s[8:9], -1
	s_waitcnt vmcnt(0)
	v_lshlrev_b32_e32 v42, 16, v1
	s_branch .LBB17_1474
.LBB17_1470:
	s_mov_b64 s[10:11], -1
                                        ; implicit-def: $vgpr42
	s_branch .LBB17_1475
.LBB17_1471:
	s_or_saveexec_b64 s[8:9], s[8:9]
	v_mov_b32_e32 v42, s12
	s_xor_b64 exec, exec, s[8:9]
	s_cbranch_execz .LBB17_1452
.LBB17_1472:
	v_cmp_ne_u16_e32 vcc, 0, v1
	s_andn2_b64 s[6:7], s[6:7], exec
	s_and_b64 s[10:11], vcc, exec
	v_mov_b32_e32 v42, 0
	s_or_b64 s[6:7], s[6:7], s[10:11]
	s_or_b64 exec, exec, s[8:9]
	s_and_saveexec_b64 s[8:9], s[6:7]
	s_cbranch_execnz .LBB17_1453
	s_branch .LBB17_1454
.LBB17_1473:
	s_mov_b64 s[4:5], -1
                                        ; implicit-def: $vgpr42
.LBB17_1474:
	s_mov_b64 s[10:11], 0
.LBB17_1475:
	s_mov_b64 s[6:7], 0
	s_and_b64 vcc, exec, s[10:11]
	s_cbranch_vccz .LBB17_1477
; %bb.1476:
	v_mov_b32_e32 v1, 11
	v_cmp_ne_u16_sdwa s[4:5], s15, v1 src0_sel:BYTE_0 src1_sel:DWORD
	s_mov_b64 s[6:7], -1
                                        ; implicit-def: $vgpr42
.LBB17_1477:
	s_and_b64 vcc, exec, s[4:5]
	s_cbranch_vccnz .LBB17_1540
; %bb.1478:
	s_andn2_b64 vcc, exec, s[6:7]
	s_cbranch_vccnz .LBB17_1480
.LBB17_1479:
	global_load_ubyte v1, v[4:5], off
	s_mov_b64 s[8:9], -1
	s_waitcnt vmcnt(0)
	v_cmp_ne_u16_e32 vcc, 0, v1
	v_cndmask_b32_e64 v42, 0, 1.0, vcc
.LBB17_1480:
	s_branch .LBB17_1408
.LBB17_1481:
	v_mov_b32_e32 v1, 5
	v_cmp_lt_i16_sdwa s[4:5], s15, v1 src0_sel:BYTE_0 src1_sel:DWORD
	s_and_b64 vcc, exec, s[4:5]
	s_cbranch_vccnz .LBB17_1486
; %bb.1482:
	v_mov_b32_e32 v1, 8
	v_cmp_lt_i16_sdwa s[4:5], s15, v1 src0_sel:BYTE_0 src1_sel:DWORD
	s_and_b64 vcc, exec, s[4:5]
	s_cbranch_vccnz .LBB17_1487
; %bb.1483:
	;; [unrolled: 5-line block ×3, first 2 shown]
	v_cmp_gt_i16_sdwa s[4:5], s15, v1 src0_sel:BYTE_0 src1_sel:DWORD
	s_and_b64 vcc, exec, s[4:5]
	s_cbranch_vccz .LBB17_1489
; %bb.1485:
	global_load_dwordx2 v[6:7], v[4:5], off
	s_mov_b64 s[4:5], 0
	s_waitcnt vmcnt(0)
	v_cvt_f32_f64_e32 v42, v[6:7]
	s_branch .LBB17_1490
.LBB17_1486:
	s_mov_b64 s[4:5], -1
                                        ; implicit-def: $vgpr42
	s_branch .LBB17_1508
.LBB17_1487:
	s_mov_b64 s[4:5], -1
                                        ; implicit-def: $vgpr42
	s_branch .LBB17_1496
.LBB17_1488:
	s_mov_b64 s[4:5], -1
                                        ; implicit-def: $vgpr42
	s_branch .LBB17_1493
.LBB17_1489:
	s_mov_b64 s[4:5], -1
                                        ; implicit-def: $vgpr42
.LBB17_1490:
	s_andn2_b64 vcc, exec, s[4:5]
	s_cbranch_vccnz .LBB17_1492
; %bb.1491:
	global_load_dword v42, v[4:5], off
.LBB17_1492:
	s_mov_b64 s[4:5], 0
.LBB17_1493:
	s_andn2_b64 vcc, exec, s[4:5]
	s_cbranch_vccnz .LBB17_1495
; %bb.1494:
	global_load_dword v1, v[4:5], off
	s_waitcnt vmcnt(0)
	v_cvt_f32_f16_e32 v42, v1
.LBB17_1495:
	s_mov_b64 s[4:5], 0
.LBB17_1496:
	s_andn2_b64 vcc, exec, s[4:5]
	s_cbranch_vccnz .LBB17_1507
; %bb.1497:
	v_mov_b32_e32 v1, 6
	v_cmp_lt_i16_sdwa s[4:5], s15, v1 src0_sel:BYTE_0 src1_sel:DWORD
	s_and_b64 vcc, exec, s[4:5]
	s_cbranch_vccnz .LBB17_1500
; %bb.1498:
	v_cmp_gt_i16_sdwa s[4:5], s15, v1 src0_sel:BYTE_0 src1_sel:DWORD
	s_and_b64 vcc, exec, s[4:5]
	s_cbranch_vccz .LBB17_1501
; %bb.1499:
	global_load_dwordx2 v[6:7], v[4:5], off
	s_mov_b64 s[4:5], 0
	s_waitcnt vmcnt(0)
	v_cvt_f32_f64_e32 v42, v[6:7]
	s_branch .LBB17_1502
.LBB17_1500:
	s_mov_b64 s[4:5], -1
                                        ; implicit-def: $vgpr42
	s_branch .LBB17_1505
.LBB17_1501:
	s_mov_b64 s[4:5], -1
                                        ; implicit-def: $vgpr42
.LBB17_1502:
	s_andn2_b64 vcc, exec, s[4:5]
	s_cbranch_vccnz .LBB17_1504
; %bb.1503:
	global_load_dword v42, v[4:5], off
.LBB17_1504:
	s_mov_b64 s[4:5], 0
.LBB17_1505:
	s_andn2_b64 vcc, exec, s[4:5]
	s_cbranch_vccnz .LBB17_1507
; %bb.1506:
	global_load_ushort v1, v[4:5], off
	s_waitcnt vmcnt(0)
	v_cvt_f32_f16_e32 v42, v1
.LBB17_1507:
	s_mov_b64 s[4:5], 0
.LBB17_1508:
	s_andn2_b64 vcc, exec, s[4:5]
	s_cbranch_vccnz .LBB17_1528
; %bb.1509:
	v_mov_b32_e32 v1, 2
	v_cmp_lt_i16_sdwa s[4:5], s15, v1 src0_sel:BYTE_0 src1_sel:DWORD
	s_and_b64 vcc, exec, s[4:5]
	s_cbranch_vccnz .LBB17_1513
; %bb.1510:
	v_mov_b32_e32 v1, 3
	v_cmp_lt_i16_sdwa s[4:5], s15, v1 src0_sel:BYTE_0 src1_sel:DWORD
	s_and_b64 vcc, exec, s[4:5]
	s_cbranch_vccnz .LBB17_1514
; %bb.1511:
	v_cmp_gt_i16_sdwa s[4:5], s15, v1 src0_sel:BYTE_0 src1_sel:DWORD
	s_and_b64 vcc, exec, s[4:5]
	s_cbranch_vccz .LBB17_1515
; %bb.1512:
	global_load_dwordx2 v[6:7], v[4:5], off
	s_mov_b64 s[4:5], 0
	s_waitcnt vmcnt(0)
	v_xor_b32_e32 v3, v6, v7
	v_ffbh_i32_e32 v1, v7
	v_ashrrev_i32_e32 v3, 31, v3
	v_add_u32_e32 v1, -1, v1
	v_add_u32_e32 v3, 32, v3
	v_min_u32_e32 v1, v1, v3
	v_lshlrev_b64 v[6:7], v1, v[6:7]
	v_min_u32_e32 v3, 1, v6
	v_or_b32_e32 v3, v7, v3
	v_cvt_f32_i32_e32 v3, v3
	v_sub_u32_e32 v1, 32, v1
	v_ldexp_f32 v42, v3, v1
	s_branch .LBB17_1516
.LBB17_1513:
	s_mov_b64 s[4:5], -1
                                        ; implicit-def: $vgpr42
	s_branch .LBB17_1522
.LBB17_1514:
	s_mov_b64 s[4:5], -1
                                        ; implicit-def: $vgpr42
	s_branch .LBB17_1519
.LBB17_1515:
	s_mov_b64 s[4:5], -1
                                        ; implicit-def: $vgpr42
.LBB17_1516:
	s_andn2_b64 vcc, exec, s[4:5]
	s_cbranch_vccnz .LBB17_1518
; %bb.1517:
	global_load_dword v1, v[4:5], off
	s_waitcnt vmcnt(0)
	v_cvt_f32_i32_e32 v42, v1
.LBB17_1518:
	s_mov_b64 s[4:5], 0
.LBB17_1519:
	s_andn2_b64 vcc, exec, s[4:5]
	s_cbranch_vccnz .LBB17_1521
; %bb.1520:
	global_load_sshort v1, v[4:5], off
	s_waitcnt vmcnt(0)
	v_cvt_f32_i32_e32 v42, v1
.LBB17_1521:
	s_mov_b64 s[4:5], 0
.LBB17_1522:
	s_andn2_b64 vcc, exec, s[4:5]
	s_cbranch_vccnz .LBB17_1528
; %bb.1523:
	v_mov_b32_e32 v1, 0
	v_cmp_gt_i16_sdwa s[4:5], s15, v1 src0_sel:BYTE_0 src1_sel:DWORD
	s_and_b64 vcc, exec, s[4:5]
	s_cbranch_vccz .LBB17_1525
; %bb.1524:
	global_load_sbyte v1, v[4:5], off
	s_mov_b64 s[4:5], 0
	s_waitcnt vmcnt(0)
	v_cvt_f32_i32_e32 v42, v1
	s_branch .LBB17_1526
.LBB17_1525:
	s_mov_b64 s[4:5], -1
                                        ; implicit-def: $vgpr42
.LBB17_1526:
	s_andn2_b64 vcc, exec, s[4:5]
	s_cbranch_vccnz .LBB17_1528
; %bb.1527:
	global_load_ubyte v1, v[4:5], off
	s_waitcnt vmcnt(0)
	v_cvt_f32_ubyte0_e32 v42, v1
.LBB17_1528:
.LBB17_1529:
	v_mov_b32_e32 v1, s43
	v_add_co_u32_e32 v2, vcc, s42, v2
	v_addc_co_u32_e32 v3, vcc, 0, v1, vcc
	v_mov_b32_e32 v1, 11
	v_cmp_lt_i16_sdwa s[4:5], s15, v1 src0_sel:BYTE_0 src1_sel:DWORD
	s_and_b64 vcc, exec, s[4:5]
	s_cbranch_vccnz .LBB17_1536
; %bb.1530:
	v_mov_b32_e32 v1, 25
	v_cmp_gt_i16_sdwa s[4:5], s15, v1 src0_sel:BYTE_0 src1_sel:DWORD
	s_mov_b64 s[6:7], 0
	s_and_b64 vcc, exec, s[4:5]
	s_cbranch_vccz .LBB17_1537
; %bb.1531:
	v_mov_b32_e32 v1, 28
	v_cmp_gt_i16_sdwa s[4:5], s15, v1 src0_sel:BYTE_0 src1_sel:DWORD
	s_and_b64 vcc, exec, s[4:5]
	s_cbranch_vccz .LBB17_1538
; %bb.1532:
	v_mov_b32_e32 v1, 43
	v_cmp_gt_i16_sdwa s[4:5], s15, v1 src0_sel:BYTE_0 src1_sel:DWORD
	;; [unrolled: 5-line block ×3, first 2 shown]
	s_and_b64 vcc, exec, s[4:5]
	s_cbranch_vccz .LBB17_1541
; %bb.1534:
	v_mov_b32_e32 v1, 46
	v_cmp_eq_u16_sdwa s[4:5], s15, v1 src0_sel:BYTE_0 src1_sel:DWORD
	s_mov_b64 s[10:11], 0
	s_and_b64 vcc, exec, s[4:5]
	s_cbranch_vccz .LBB17_1542
; %bb.1535:
	global_load_dword v1, v[2:3], off
	s_mov_b64 s[4:5], 0
	s_mov_b64 s[8:9], -1
	s_waitcnt vmcnt(0)
	v_lshlrev_b32_e32 v43, 16, v1
	s_branch .LBB17_1543
.LBB17_1536:
	s_mov_b64 s[4:5], -1
	s_mov_b64 s[8:9], 0
                                        ; implicit-def: $vgpr43
	s_branch .LBB17_1609
.LBB17_1537:
	s_mov_b64 s[10:11], -1
	s_mov_b64 s[8:9], 0
	s_mov_b64 s[4:5], 0
                                        ; implicit-def: $vgpr43
	s_branch .LBB17_1572
.LBB17_1538:
	s_mov_b64 s[10:11], -1
	s_mov_b64 s[8:9], 0
	s_mov_b64 s[4:5], 0
                                        ; implicit-def: $vgpr43
	s_branch .LBB17_1553
.LBB17_1539:
	s_mov_b64 s[10:11], -1
	s_mov_b64 s[8:9], 0
	s_mov_b64 s[4:5], 0
                                        ; implicit-def: $vgpr43
	s_branch .LBB17_1548
.LBB17_1540:
	s_trap 2
	s_or_b64 s[36:37], s[36:37], exec
                                        ; implicit-def: $vgpr42
	s_cbranch_execz .LBB17_1479
	s_branch .LBB17_1480
.LBB17_1541:
	s_mov_b64 s[10:11], -1
	s_mov_b64 s[8:9], 0
	s_mov_b64 s[4:5], 0
                                        ; implicit-def: $vgpr43
	s_branch .LBB17_1543
.LBB17_1542:
	s_mov_b64 s[4:5], -1
                                        ; implicit-def: $vgpr43
	s_mov_b64 s[8:9], 0
.LBB17_1543:
	s_and_b64 vcc, exec, s[10:11]
	s_cbranch_vccz .LBB17_1547
; %bb.1544:
	v_mov_b32_e32 v1, 44
	v_cmp_eq_u16_sdwa s[4:5], s15, v1 src0_sel:BYTE_0 src1_sel:DWORD
	s_and_b64 vcc, exec, s[4:5]
	s_cbranch_vccz .LBB17_1546
; %bb.1545:
	global_load_ubyte v1, v[2:3], off
	s_movk_i32 s8, 0xff
	v_mov_b32_e32 v4, 0x7f800001
	v_mov_b32_e32 v5, 0x400000
	s_mov_b64 s[4:5], 0
	s_waitcnt vmcnt(0)
	v_lshlrev_b32_e32 v6, 23, v1
	v_cmp_ne_u32_e32 vcc, s8, v1
	v_cndmask_b32_e32 v4, v4, v6, vcc
	v_cmp_ne_u32_e32 vcc, 0, v1
	v_cndmask_b32_e32 v43, v5, v4, vcc
	s_mov_b64 s[8:9], -1
	s_branch .LBB17_1547
.LBB17_1546:
	s_mov_b64 s[4:5], -1
                                        ; implicit-def: $vgpr43
.LBB17_1547:
	s_mov_b64 s[10:11], 0
.LBB17_1548:
	s_and_b64 vcc, exec, s[10:11]
	s_cbranch_vccz .LBB17_1552
; %bb.1549:
	v_mov_b32_e32 v1, 29
	v_cmp_eq_u16_sdwa s[4:5], s15, v1 src0_sel:BYTE_0 src1_sel:DWORD
	s_and_b64 vcc, exec, s[4:5]
	s_cbranch_vccz .LBB17_1551
; %bb.1550:
	global_load_dwordx2 v[4:5], v[2:3], off
	s_mov_b64 s[4:5], 0
	s_mov_b64 s[8:9], -1
	s_mov_b64 s[10:11], 0
	s_waitcnt vmcnt(0)
	v_ffbh_u32_e32 v1, v5
	v_min_u32_e32 v1, 32, v1
	v_lshlrev_b64 v[4:5], v1, v[4:5]
	v_min_u32_e32 v4, 1, v4
	v_or_b32_e32 v4, v5, v4
	v_cvt_f32_u32_e32 v4, v4
	v_sub_u32_e32 v1, 32, v1
	v_ldexp_f32 v43, v4, v1
	s_branch .LBB17_1553
.LBB17_1551:
	s_mov_b64 s[4:5], -1
                                        ; implicit-def: $vgpr43
.LBB17_1552:
	s_mov_b64 s[10:11], 0
.LBB17_1553:
	s_and_b64 vcc, exec, s[10:11]
	s_cbranch_vccz .LBB17_1571
; %bb.1554:
	v_mov_b32_e32 v1, 27
	v_cmp_lt_i16_sdwa s[8:9], s15, v1 src0_sel:BYTE_0 src1_sel:DWORD
	s_and_b64 vcc, exec, s[8:9]
	s_cbranch_vccnz .LBB17_1557
; %bb.1555:
	v_cmp_gt_i16_sdwa s[8:9], s15, v1 src0_sel:BYTE_0 src1_sel:DWORD
	s_and_b64 vcc, exec, s[8:9]
	s_cbranch_vccz .LBB17_1558
; %bb.1556:
	global_load_dword v1, v[2:3], off
	s_mov_b64 s[8:9], 0
	s_waitcnt vmcnt(0)
	v_cvt_f32_u32_e32 v43, v1
	s_branch .LBB17_1559
.LBB17_1557:
	s_mov_b64 s[8:9], -1
                                        ; implicit-def: $vgpr43
	s_branch .LBB17_1562
.LBB17_1558:
	s_mov_b64 s[8:9], -1
                                        ; implicit-def: $vgpr43
.LBB17_1559:
	s_andn2_b64 vcc, exec, s[8:9]
	s_cbranch_vccnz .LBB17_1561
; %bb.1560:
	global_load_ushort v1, v[2:3], off
	s_waitcnt vmcnt(0)
	v_cvt_f32_u32_e32 v43, v1
.LBB17_1561:
	s_mov_b64 s[8:9], 0
.LBB17_1562:
	s_andn2_b64 vcc, exec, s[8:9]
	s_cbranch_vccnz .LBB17_1570
; %bb.1563:
	global_load_ubyte v1, v[2:3], off
	s_movk_i32 s8, 0x7f
                                        ; implicit-def: $sgpr16
	s_waitcnt vmcnt(0)
	v_cmp_lt_i16_e32 vcc, s8, v1
	s_mov_b64 s[8:9], 0
	s_and_saveexec_b64 s[10:11], vcc
	s_xor_b64 s[10:11], exec, s[10:11]
	s_cbranch_execz .LBB17_1584
; %bb.1564:
	s_movk_i32 s8, 0x80
	v_cmp_eq_u16_e32 vcc, s8, v1
	s_mov_b64 s[8:9], -1
                                        ; implicit-def: $sgpr16
	s_and_saveexec_b64 s[12:13], vcc
; %bb.1565:
	s_mov_b32 s16, 0x7f800001
	s_xor_b64 s[8:9], exec, -1
; %bb.1566:
	s_or_b64 exec, exec, s[12:13]
	s_and_b64 s[8:9], s[8:9], exec
	s_or_saveexec_b64 s[10:11], s[10:11]
	v_mov_b32_e32 v43, s16
	s_xor_b64 exec, exec, s[10:11]
	s_cbranch_execnz .LBB17_1585
.LBB17_1567:
	s_or_b64 exec, exec, s[10:11]
	s_and_saveexec_b64 s[10:11], s[8:9]
	s_cbranch_execz .LBB17_1569
.LBB17_1568:
	v_lshlrev_b32_e32 v4, 24, v1
	v_and_b32_e32 v1, 0xffff, v1
	v_and_b32_e32 v5, 7, v1
	v_ffbh_u32_e32 v7, v5
	v_min_u32_e32 v7, 32, v7
	v_subrev_u32_e32 v8, 28, v7
	v_bfe_u32 v6, v1, 3, 4
	v_lshlrev_b32_e32 v1, v8, v1
	v_sub_u32_e32 v7, 29, v7
	v_and_b32_e32 v1, 7, v1
	v_cmp_eq_u32_e32 vcc, 0, v6
	v_cndmask_b32_e32 v6, v6, v7, vcc
	v_cndmask_b32_e32 v1, v5, v1, vcc
	v_mov_b32_e32 v5, 0x3b800000
	v_lshlrev_b32_e32 v1, 20, v1
	v_and_b32_e32 v4, 0x80000000, v4
	v_lshl_add_u32 v5, v6, 23, v5
	v_or3_b32 v43, v4, v5, v1
.LBB17_1569:
	s_or_b64 exec, exec, s[10:11]
.LBB17_1570:
	s_mov_b64 s[8:9], -1
.LBB17_1571:
	s_mov_b64 s[10:11], 0
.LBB17_1572:
	s_and_b64 vcc, exec, s[10:11]
	s_cbranch_vccz .LBB17_1605
; %bb.1573:
	v_mov_b32_e32 v1, 22
	v_cmp_gt_i16_sdwa s[6:7], s15, v1 src0_sel:BYTE_0 src1_sel:DWORD
	s_and_b64 vcc, exec, s[6:7]
	s_cbranch_vccz .LBB17_1583
; %bb.1574:
	v_mov_b32_e32 v1, 24
	v_cmp_lt_i16_sdwa s[6:7], s15, v1 src0_sel:BYTE_0 src1_sel:DWORD
	s_and_b64 vcc, exec, s[6:7]
	s_cbranch_vccnz .LBB17_1586
; %bb.1575:
	v_cmp_gt_i16_sdwa s[6:7], s15, v1 src0_sel:BYTE_0 src1_sel:DWORD
	s_and_b64 vcc, exec, s[6:7]
	s_cbranch_vccz .LBB17_1587
; %bb.1576:
	global_load_ubyte v1, v[2:3], off
	s_movk_i32 s6, 0x7f
                                        ; implicit-def: $sgpr12
	s_waitcnt vmcnt(0)
	v_cmp_lt_i16_e32 vcc, s6, v1
	s_mov_b64 s[6:7], 0
	s_and_saveexec_b64 s[8:9], vcc
	s_xor_b64 s[8:9], exec, s[8:9]
	s_cbranch_execz .LBB17_1599
; %bb.1577:
	s_movk_i32 s6, 0x80
	v_cmp_eq_u16_e32 vcc, s6, v1
	s_mov_b64 s[6:7], -1
                                        ; implicit-def: $sgpr12
	s_and_saveexec_b64 s[10:11], vcc
; %bb.1578:
	s_mov_b32 s12, 0x7f800001
	s_xor_b64 s[6:7], exec, -1
; %bb.1579:
	s_or_b64 exec, exec, s[10:11]
	s_and_b64 s[6:7], s[6:7], exec
	s_or_saveexec_b64 s[8:9], s[8:9]
	v_mov_b32_e32 v43, s12
	s_xor_b64 exec, exec, s[8:9]
	s_cbranch_execnz .LBB17_1600
.LBB17_1580:
	s_or_b64 exec, exec, s[8:9]
	s_and_saveexec_b64 s[8:9], s[6:7]
	s_cbranch_execz .LBB17_1582
.LBB17_1581:
	v_lshlrev_b32_e32 v4, 24, v1
	v_and_b32_e32 v1, 0xffff, v1
	v_and_b32_e32 v5, 3, v1
	v_ffbh_u32_e32 v7, v5
	v_min_u32_e32 v7, 32, v7
	v_subrev_u32_e32 v8, 29, v7
	v_bfe_u32 v6, v1, 2, 5
	v_lshlrev_b32_e32 v1, v8, v1
	v_sub_u32_e32 v7, 30, v7
	v_and_b32_e32 v1, 3, v1
	v_cmp_eq_u32_e32 vcc, 0, v6
	v_cndmask_b32_e32 v6, v6, v7, vcc
	v_cndmask_b32_e32 v1, v5, v1, vcc
	v_mov_b32_e32 v5, 0x37800000
	v_lshlrev_b32_e32 v1, 21, v1
	v_and_b32_e32 v4, 0x80000000, v4
	v_lshl_add_u32 v5, v6, 23, v5
	v_or3_b32 v43, v4, v5, v1
.LBB17_1582:
	s_or_b64 exec, exec, s[8:9]
	s_mov_b64 s[6:7], 0
	s_branch .LBB17_1588
.LBB17_1583:
	s_mov_b64 s[6:7], -1
                                        ; implicit-def: $vgpr43
	s_branch .LBB17_1594
.LBB17_1584:
	s_or_saveexec_b64 s[10:11], s[10:11]
	v_mov_b32_e32 v43, s16
	s_xor_b64 exec, exec, s[10:11]
	s_cbranch_execz .LBB17_1567
.LBB17_1585:
	v_cmp_ne_u16_e32 vcc, 0, v1
	s_andn2_b64 s[8:9], s[8:9], exec
	s_and_b64 s[12:13], vcc, exec
	v_mov_b32_e32 v43, 0
	s_or_b64 s[8:9], s[8:9], s[12:13]
	s_or_b64 exec, exec, s[10:11]
	s_and_saveexec_b64 s[10:11], s[8:9]
	s_cbranch_execnz .LBB17_1568
	s_branch .LBB17_1569
.LBB17_1586:
	s_mov_b64 s[6:7], -1
                                        ; implicit-def: $vgpr43
	s_branch .LBB17_1591
.LBB17_1587:
	s_mov_b64 s[6:7], -1
                                        ; implicit-def: $vgpr43
.LBB17_1588:
	s_and_b64 vcc, exec, s[6:7]
	s_cbranch_vccz .LBB17_1590
; %bb.1589:
	global_load_ubyte v1, v[2:3], off
	s_mov_b32 s6, 0x7f800000
	s_waitcnt vmcnt(0)
	v_lshlrev_b32_e32 v1, 24, v1
	v_and_b32_e32 v4, 0x7f000000, v1
	v_ffbh_u32_e32 v5, v4
	v_min_u32_e32 v5, 32, v5
	v_sub_u32_e64 v5, v5, 4 clamp
	v_lshlrev_b32_e32 v7, v5, v4
	v_lshlrev_b32_e32 v5, 23, v5
	v_lshrrev_b32_e32 v7, 4, v7
	v_add_u32_e32 v6, 0x1000000, v4
	v_sub_u32_e32 v5, v7, v5
	v_ashrrev_i32_e32 v6, 8, v6
	v_add_u32_e32 v5, 0x3c000000, v5
	v_and_or_b32 v5, v6, s6, v5
	v_cmp_ne_u32_e32 vcc, 0, v4
	v_cndmask_b32_e32 v4, 0, v5, vcc
	s_brev_b32 s6, 1
	v_and_or_b32 v43, v1, s6, v4
.LBB17_1590:
	s_mov_b64 s[6:7], 0
.LBB17_1591:
	s_andn2_b64 vcc, exec, s[6:7]
	s_cbranch_vccnz .LBB17_1593
; %bb.1592:
	global_load_ubyte v1, v[2:3], off
	s_movk_i32 s6, 0x7f00
	s_brev_b32 s7, 16
	s_waitcnt vmcnt(0)
	v_lshlrev_b16_e32 v4, 8, v1
	v_lshlrev_b32_e32 v1, 25, v1
	v_lshrrev_b32_e32 v5, 4, v1
	v_and_or_b32 v6, v4, s6, 0.5
	v_or_b32_e32 v5, 0x70000000, v5
	v_add_f32_e32 v6, -0.5, v6
	v_mul_f32_e32 v5, 0x7800000, v5
	v_cmp_gt_u32_e32 vcc, s7, v1
	v_bfe_i32 v4, v4, 0, 16
	v_cndmask_b32_e32 v1, v5, v6, vcc
	s_brev_b32 s6, 1
	v_and_or_b32 v43, v4, s6, v1
.LBB17_1593:
	s_mov_b64 s[6:7], 0
	s_mov_b64 s[8:9], -1
.LBB17_1594:
	s_andn2_b64 vcc, exec, s[6:7]
	s_mov_b64 s[6:7], 0
	s_cbranch_vccnz .LBB17_1605
; %bb.1595:
	v_mov_b32_e32 v1, 14
	v_cmp_gt_i16_sdwa s[6:7], s15, v1 src0_sel:BYTE_0 src1_sel:DWORD
	s_and_b64 vcc, exec, s[6:7]
	s_cbranch_vccz .LBB17_1598
; %bb.1596:
	v_mov_b32_e32 v1, 15
	v_cmp_eq_u16_sdwa s[4:5], s15, v1 src0_sel:BYTE_0 src1_sel:DWORD
	s_and_b64 vcc, exec, s[4:5]
	s_cbranch_vccz .LBB17_1601
; %bb.1597:
	global_load_ushort v1, v[2:3], off
	s_mov_b64 s[4:5], 0
	s_mov_b64 s[8:9], -1
	s_waitcnt vmcnt(0)
	v_lshlrev_b32_e32 v43, 16, v1
	s_branch .LBB17_1602
.LBB17_1598:
	s_mov_b64 s[10:11], -1
                                        ; implicit-def: $vgpr43
	s_branch .LBB17_1603
.LBB17_1599:
	s_or_saveexec_b64 s[8:9], s[8:9]
	v_mov_b32_e32 v43, s12
	s_xor_b64 exec, exec, s[8:9]
	s_cbranch_execz .LBB17_1580
.LBB17_1600:
	v_cmp_ne_u16_e32 vcc, 0, v1
	s_andn2_b64 s[6:7], s[6:7], exec
	s_and_b64 s[10:11], vcc, exec
	v_mov_b32_e32 v43, 0
	s_or_b64 s[6:7], s[6:7], s[10:11]
	s_or_b64 exec, exec, s[8:9]
	s_and_saveexec_b64 s[8:9], s[6:7]
	s_cbranch_execnz .LBB17_1581
	s_branch .LBB17_1582
.LBB17_1601:
	s_mov_b64 s[4:5], -1
                                        ; implicit-def: $vgpr43
.LBB17_1602:
	s_mov_b64 s[10:11], 0
.LBB17_1603:
	s_mov_b64 s[6:7], 0
	s_and_b64 vcc, exec, s[10:11]
	s_cbranch_vccz .LBB17_1605
; %bb.1604:
	v_mov_b32_e32 v1, 11
	v_cmp_ne_u16_sdwa s[4:5], s15, v1 src0_sel:BYTE_0 src1_sel:DWORD
	s_mov_b64 s[6:7], -1
                                        ; implicit-def: $vgpr43
.LBB17_1605:
	s_and_b64 vcc, exec, s[4:5]
	s_cbranch_vccnz .LBB17_1669
; %bb.1606:
	s_andn2_b64 vcc, exec, s[6:7]
	s_cbranch_vccnz .LBB17_1608
.LBB17_1607:
	global_load_ubyte v1, v[2:3], off
	s_mov_b64 s[8:9], -1
	s_waitcnt vmcnt(0)
	v_cmp_ne_u16_e32 vcc, 0, v1
	v_cndmask_b32_e64 v43, 0, 1.0, vcc
.LBB17_1608:
	s_mov_b64 s[4:5], 0
.LBB17_1609:
	s_and_b64 vcc, exec, s[4:5]
	s_cbranch_vccz .LBB17_1658
; %bb.1610:
	v_mov_b32_e32 v1, 5
	v_cmp_lt_i16_sdwa s[4:5], s15, v1 src0_sel:BYTE_0 src1_sel:DWORD
	s_and_b64 vcc, exec, s[4:5]
	s_cbranch_vccnz .LBB17_1615
; %bb.1611:
	v_mov_b32_e32 v1, 8
	v_cmp_lt_i16_sdwa s[4:5], s15, v1 src0_sel:BYTE_0 src1_sel:DWORD
	s_and_b64 vcc, exec, s[4:5]
	s_cbranch_vccnz .LBB17_1616
	;; [unrolled: 5-line block ×3, first 2 shown]
; %bb.1613:
	v_cmp_gt_i16_sdwa s[4:5], s15, v1 src0_sel:BYTE_0 src1_sel:DWORD
	s_and_b64 vcc, exec, s[4:5]
	s_cbranch_vccz .LBB17_1618
; %bb.1614:
	global_load_dwordx2 v[4:5], v[2:3], off
	s_mov_b64 s[4:5], 0
	s_waitcnt vmcnt(0)
	v_cvt_f32_f64_e32 v43, v[4:5]
	s_branch .LBB17_1619
.LBB17_1615:
	s_mov_b64 s[4:5], -1
                                        ; implicit-def: $vgpr43
	s_branch .LBB17_1637
.LBB17_1616:
	s_mov_b64 s[4:5], -1
                                        ; implicit-def: $vgpr43
	s_branch .LBB17_1625
.LBB17_1617:
	s_mov_b64 s[4:5], -1
                                        ; implicit-def: $vgpr43
	s_branch .LBB17_1622
.LBB17_1618:
	s_mov_b64 s[4:5], -1
                                        ; implicit-def: $vgpr43
.LBB17_1619:
	s_andn2_b64 vcc, exec, s[4:5]
	s_cbranch_vccnz .LBB17_1621
; %bb.1620:
	global_load_dword v43, v[2:3], off
.LBB17_1621:
	s_mov_b64 s[4:5], 0
.LBB17_1622:
	s_andn2_b64 vcc, exec, s[4:5]
	s_cbranch_vccnz .LBB17_1624
; %bb.1623:
	global_load_dword v1, v[2:3], off
	s_waitcnt vmcnt(0)
	v_cvt_f32_f16_e32 v43, v1
.LBB17_1624:
	s_mov_b64 s[4:5], 0
.LBB17_1625:
	s_andn2_b64 vcc, exec, s[4:5]
	s_cbranch_vccnz .LBB17_1636
; %bb.1626:
	v_mov_b32_e32 v1, 6
	v_cmp_lt_i16_sdwa s[4:5], s15, v1 src0_sel:BYTE_0 src1_sel:DWORD
	s_and_b64 vcc, exec, s[4:5]
	s_cbranch_vccnz .LBB17_1629
; %bb.1627:
	v_cmp_gt_i16_sdwa s[4:5], s15, v1 src0_sel:BYTE_0 src1_sel:DWORD
	s_and_b64 vcc, exec, s[4:5]
	s_cbranch_vccz .LBB17_1630
; %bb.1628:
	global_load_dwordx2 v[4:5], v[2:3], off
	s_mov_b64 s[4:5], 0
	s_waitcnt vmcnt(0)
	v_cvt_f32_f64_e32 v43, v[4:5]
	s_branch .LBB17_1631
.LBB17_1629:
	s_mov_b64 s[4:5], -1
                                        ; implicit-def: $vgpr43
	s_branch .LBB17_1634
.LBB17_1630:
	s_mov_b64 s[4:5], -1
                                        ; implicit-def: $vgpr43
.LBB17_1631:
	s_andn2_b64 vcc, exec, s[4:5]
	s_cbranch_vccnz .LBB17_1633
; %bb.1632:
	global_load_dword v43, v[2:3], off
.LBB17_1633:
	s_mov_b64 s[4:5], 0
.LBB17_1634:
	s_andn2_b64 vcc, exec, s[4:5]
	s_cbranch_vccnz .LBB17_1636
; %bb.1635:
	global_load_ushort v1, v[2:3], off
	s_waitcnt vmcnt(0)
	v_cvt_f32_f16_e32 v43, v1
.LBB17_1636:
	s_mov_b64 s[4:5], 0
.LBB17_1637:
	s_andn2_b64 vcc, exec, s[4:5]
	s_cbranch_vccnz .LBB17_1657
; %bb.1638:
	v_mov_b32_e32 v1, 2
	v_cmp_lt_i16_sdwa s[4:5], s15, v1 src0_sel:BYTE_0 src1_sel:DWORD
	s_and_b64 vcc, exec, s[4:5]
	s_cbranch_vccnz .LBB17_1642
; %bb.1639:
	v_mov_b32_e32 v1, 3
	v_cmp_lt_i16_sdwa s[4:5], s15, v1 src0_sel:BYTE_0 src1_sel:DWORD
	s_and_b64 vcc, exec, s[4:5]
	s_cbranch_vccnz .LBB17_1643
; %bb.1640:
	v_cmp_gt_i16_sdwa s[4:5], s15, v1 src0_sel:BYTE_0 src1_sel:DWORD
	s_and_b64 vcc, exec, s[4:5]
	s_cbranch_vccz .LBB17_1644
; %bb.1641:
	global_load_dwordx2 v[4:5], v[2:3], off
	s_mov_b64 s[4:5], 0
	s_waitcnt vmcnt(0)
	v_xor_b32_e32 v6, v4, v5
	v_ffbh_i32_e32 v1, v5
	v_ashrrev_i32_e32 v6, 31, v6
	v_add_u32_e32 v1, -1, v1
	v_add_u32_e32 v6, 32, v6
	v_min_u32_e32 v1, v1, v6
	v_lshlrev_b64 v[4:5], v1, v[4:5]
	v_min_u32_e32 v4, 1, v4
	v_or_b32_e32 v4, v5, v4
	v_cvt_f32_i32_e32 v4, v4
	v_sub_u32_e32 v1, 32, v1
	v_ldexp_f32 v43, v4, v1
	s_branch .LBB17_1645
.LBB17_1642:
	s_mov_b64 s[4:5], -1
                                        ; implicit-def: $vgpr43
	s_branch .LBB17_1651
.LBB17_1643:
	s_mov_b64 s[4:5], -1
                                        ; implicit-def: $vgpr43
	s_branch .LBB17_1648
.LBB17_1644:
	s_mov_b64 s[4:5], -1
                                        ; implicit-def: $vgpr43
.LBB17_1645:
	s_andn2_b64 vcc, exec, s[4:5]
	s_cbranch_vccnz .LBB17_1647
; %bb.1646:
	global_load_dword v1, v[2:3], off
	s_waitcnt vmcnt(0)
	v_cvt_f32_i32_e32 v43, v1
.LBB17_1647:
	s_mov_b64 s[4:5], 0
.LBB17_1648:
	s_andn2_b64 vcc, exec, s[4:5]
	s_cbranch_vccnz .LBB17_1650
; %bb.1649:
	global_load_sshort v1, v[2:3], off
	s_waitcnt vmcnt(0)
	v_cvt_f32_i32_e32 v43, v1
.LBB17_1650:
	s_mov_b64 s[4:5], 0
.LBB17_1651:
	s_andn2_b64 vcc, exec, s[4:5]
	s_cbranch_vccnz .LBB17_1657
; %bb.1652:
	v_mov_b32_e32 v1, 0
	v_cmp_gt_i16_sdwa s[4:5], s15, v1 src0_sel:BYTE_0 src1_sel:DWORD
	s_and_b64 vcc, exec, s[4:5]
	s_cbranch_vccz .LBB17_1654
; %bb.1653:
	global_load_sbyte v1, v[2:3], off
	s_mov_b64 s[4:5], 0
	s_waitcnt vmcnt(0)
	v_cvt_f32_i32_e32 v43, v1
	s_branch .LBB17_1655
.LBB17_1654:
	s_mov_b64 s[4:5], -1
                                        ; implicit-def: $vgpr43
.LBB17_1655:
	s_andn2_b64 vcc, exec, s[4:5]
	s_cbranch_vccnz .LBB17_1657
; %bb.1656:
	global_load_ubyte v1, v[2:3], off
	s_waitcnt vmcnt(0)
	v_cvt_f32_ubyte0_e32 v43, v1
.LBB17_1657:
	s_mov_b64 s[8:9], -1
.LBB17_1658:
	s_andn2_b64 vcc, exec, s[8:9]
	s_cbranch_vccnz .LBB17_2112
; %bb.1659:
	s_lshr_b32 s38, s14, 8
	s_getpc_b64 s[4:5]
	s_add_u32 s4, s4, _Z17bessel_j1_forwardIfET_S0_@rel32@lo+4
	s_addc_u32 s5, s5, _Z17bessel_j1_forwardIfET_S0_@rel32@hi+12
	s_swappc_b64 s[30:31], s[4:5]
	v_mov_b32_e32 v1, s41
	v_add_co_u32_e32 v2, vcc, s40, v58
	v_addc_co_u32_e32 v3, vcc, 0, v1, vcc
	v_mov_b32_e32 v1, 11
	v_cmp_lt_i16_sdwa s[4:5], s38, v1 src0_sel:BYTE_0 src1_sel:DWORD
	s_and_b64 vcc, exec, s[4:5]
	s_cbranch_vccnz .LBB17_1666
; %bb.1660:
	v_mov_b32_e32 v1, 25
	v_cmp_gt_i16_sdwa s[4:5], s38, v1 src0_sel:BYTE_0 src1_sel:DWORD
	s_mov_b64 s[10:11], -1
	s_mov_b64 s[6:7], 0
	s_and_b64 vcc, exec, s[4:5]
	s_mov_b64 s[8:9], 0
	s_mov_b64 s[4:5], 0
	s_cbranch_vccz .LBB17_1698
; %bb.1661:
	v_mov_b32_e32 v1, 28
	v_cmp_gt_i16_sdwa s[4:5], s38, v1 src0_sel:BYTE_0 src1_sel:DWORD
	s_and_b64 vcc, exec, s[4:5]
	s_cbranch_vccz .LBB17_1667
; %bb.1662:
	v_mov_b32_e32 v1, 43
	v_cmp_gt_i16_sdwa s[4:5], s38, v1 src0_sel:BYTE_0 src1_sel:DWORD
	s_and_b64 vcc, exec, s[4:5]
	s_cbranch_vccz .LBB17_1668
; %bb.1663:
	v_mov_b32_e32 v1, 45
	v_cmp_gt_i16_sdwa s[4:5], s38, v1 src0_sel:BYTE_0 src1_sel:DWORD
	s_and_b64 vcc, exec, s[4:5]
	s_cbranch_vccz .LBB17_1670
; %bb.1664:
	v_mov_b32_e32 v1, 46
	v_cmp_eq_u16_sdwa s[8:9], s38, v1 src0_sel:BYTE_0 src1_sel:DWORD
	s_mov_b64 s[4:5], -1
	s_mov_b64 s[10:11], 0
	s_and_b64 vcc, exec, s[8:9]
	s_mov_b64 s[8:9], 0
	s_cbranch_vccz .LBB17_1671
; %bb.1665:
	v_bfe_u32 v1, v0, 16, 1
	s_movk_i32 s4, 0x7fff
	v_add3_u32 v1, v0, v1, s4
	v_lshrrev_b32_e32 v1, 16, v1
	v_mov_b32_e32 v4, 0x7fc0
	v_cmp_o_f32_e32 vcc, v0, v0
	v_cndmask_b32_e32 v1, v4, v1, vcc
	global_store_dword v[2:3], v1, off
	s_mov_b64 s[4:5], 0
	s_mov_b64 s[8:9], -1
	s_branch .LBB17_1671
.LBB17_1666:
	s_mov_b64 s[4:5], -1
	s_mov_b64 s[8:9], 0
	s_branch .LBB17_1742
.LBB17_1667:
	s_mov_b64 s[4:5], 0
	s_branch .LBB17_1681
.LBB17_1668:
	s_mov_b64 s[4:5], 0
	s_branch .LBB17_1677
.LBB17_1669:
	s_trap 2
	s_or_b64 s[36:37], s[36:37], exec
                                        ; implicit-def: $vgpr43
	s_cbranch_execz .LBB17_1607
	s_branch .LBB17_1608
.LBB17_1670:
	s_mov_b64 s[4:5], 0
.LBB17_1671:
	s_and_b64 vcc, exec, s[10:11]
	s_cbranch_vccz .LBB17_1676
; %bb.1672:
	v_mov_b32_e32 v1, 44
	v_cmp_eq_u16_sdwa s[10:11], s38, v1 src0_sel:BYTE_0 src1_sel:DWORD
	s_mov_b64 s[4:5], -1
	s_and_b64 vcc, exec, s[10:11]
	s_cbranch_vccz .LBB17_1676
; %bb.1673:
	v_bfe_u32 v1, v0, 23, 8
	s_movk_i32 s4, 0xff
	v_cmp_ne_u32_e32 vcc, s4, v1
	v_mov_b32_e32 v4, 0xff
	s_and_saveexec_b64 s[8:9], vcc
; %bb.1674:
	s_mov_b32 s4, 0x3fffff
	v_and_b32_e32 v5, 0x400000, v0
	v_and_or_b32 v1, v0, s4, v1
	v_cmp_ne_u32_e32 vcc, 0, v5
	v_cmp_ne_u32_e64 s[4:5], 0, v1
	s_and_b64 s[4:5], vcc, s[4:5]
	v_lshrrev_b32_e32 v4, 23, v0
	v_cndmask_b32_e64 v1, 0, 1, s[4:5]
	v_add_u32_e32 v4, v4, v1
; %bb.1675:
	s_or_b64 exec, exec, s[8:9]
	s_mov_b64 s[4:5], 0
	s_mov_b64 s[8:9], -1
	global_store_byte v[2:3], v4, off
.LBB17_1676:
	s_mov_b64 s[10:11], 0
.LBB17_1677:
	s_and_b64 vcc, exec, s[10:11]
	s_cbranch_vccz .LBB17_1680
; %bb.1678:
	v_mov_b32_e32 v1, 29
	v_cmp_eq_u16_sdwa s[10:11], s38, v1 src0_sel:BYTE_0 src1_sel:DWORD
	s_mov_b64 s[4:5], -1
	s_and_b64 vcc, exec, s[10:11]
	s_cbranch_vccz .LBB17_1680
; %bb.1679:
	v_trunc_f32_e32 v1, v0
	v_mul_f32_e32 v4, 0x2f800000, v1
	v_floor_f32_e32 v4, v4
	v_fmac_f32_e32 v1, 0xcf800000, v4
	v_cvt_u32_f32_e32 v5, v4
	v_cvt_u32_f32_e32 v4, v1
	s_mov_b64 s[4:5], 0
	s_mov_b64 s[8:9], -1
	s_mov_b64 s[10:11], 0
	global_store_dwordx2 v[2:3], v[4:5], off
	s_branch .LBB17_1681
.LBB17_1680:
	s_mov_b64 s[10:11], 0
.LBB17_1681:
	s_and_b64 vcc, exec, s[10:11]
	s_cbranch_vccz .LBB17_1697
; %bb.1682:
	v_mov_b32_e32 v1, 27
	v_cmp_lt_i16_sdwa s[10:11], s38, v1 src0_sel:BYTE_0 src1_sel:DWORD
	s_mov_b64 s[8:9], -1
	s_and_b64 vcc, exec, s[10:11]
	s_cbranch_vccnz .LBB17_1688
; %bb.1683:
	v_cmp_gt_i16_sdwa s[10:11], s38, v1 src0_sel:BYTE_0 src1_sel:DWORD
	v_cvt_u32_f32_e32 v1, v0
	s_and_b64 vcc, exec, s[10:11]
	s_cbranch_vccz .LBB17_1685
; %bb.1684:
	s_mov_b64 s[8:9], 0
	global_store_dword v[2:3], v1, off
.LBB17_1685:
	s_andn2_b64 vcc, exec, s[8:9]
	s_cbranch_vccnz .LBB17_1687
; %bb.1686:
	global_store_short v[2:3], v1, off
.LBB17_1687:
	s_mov_b64 s[8:9], 0
.LBB17_1688:
	s_andn2_b64 vcc, exec, s[8:9]
	s_cbranch_vccnz .LBB17_1696
; %bb.1689:
	v_and_b32_e32 v1, 0x7fffffff, v0
	s_mov_b32 s8, 0x43800000
	v_cmp_gt_u32_e32 vcc, s8, v1
	v_mov_b32_e32 v4, 0x80
	s_and_saveexec_b64 s[8:9], vcc
	s_cbranch_execz .LBB17_1695
; %bb.1690:
	s_mov_b32 s10, 0x3bffffff
	v_cmp_lt_u32_e32 vcc, s10, v1
	s_mov_b64 s[10:11], 0
                                        ; implicit-def: $vgpr1
	s_and_saveexec_b64 s[12:13], vcc
	s_xor_b64 s[12:13], exec, s[12:13]
	s_cbranch_execz .LBB17_1791
; %bb.1691:
	v_bfe_u32 v1, v0, 20, 1
	s_mov_b32 s14, 0x487ffff
	v_add3_u32 v1, v0, v1, s14
	s_mov_b64 s[10:11], exec
	v_lshrrev_b32_e32 v1, 20, v1
	s_or_saveexec_b64 s[12:13], s[12:13]
                                        ; implicit-def: $sgpr14
	s_xor_b64 exec, exec, s[12:13]
	s_cbranch_execnz .LBB17_1792
.LBB17_1692:
	s_or_b64 exec, exec, s[12:13]
	v_mov_b32_e32 v4, s14
	s_and_saveexec_b64 s[12:13], s[10:11]
.LBB17_1693:
	v_lshrrev_b32_e32 v4, 24, v0
	s_movk_i32 s10, 0x80
	v_and_or_b32 v4, v4, s10, v1
.LBB17_1694:
	s_or_b64 exec, exec, s[12:13]
.LBB17_1695:
	s_or_b64 exec, exec, s[8:9]
	global_store_byte v[2:3], v4, off
.LBB17_1696:
	s_mov_b64 s[8:9], -1
.LBB17_1697:
	s_mov_b64 s[10:11], 0
.LBB17_1698:
	s_and_b64 vcc, exec, s[10:11]
	s_cbranch_vccz .LBB17_1738
; %bb.1699:
	v_mov_b32_e32 v1, 22
	v_cmp_gt_i16_sdwa s[10:11], s38, v1 src0_sel:BYTE_0 src1_sel:DWORD
	s_mov_b64 s[6:7], -1
	s_and_b64 vcc, exec, s[10:11]
	s_cbranch_vccz .LBB17_1731
; %bb.1700:
	v_mov_b32_e32 v1, 24
	v_cmp_lt_i16_sdwa s[8:9], s38, v1 src0_sel:BYTE_0 src1_sel:DWORD
	s_and_b64 vcc, exec, s[8:9]
	s_cbranch_vccnz .LBB17_1720
; %bb.1701:
	v_cmp_gt_i16_sdwa s[8:9], s38, v1 src0_sel:BYTE_0 src1_sel:DWORD
	s_and_b64 vcc, exec, s[8:9]
	s_cbranch_vccz .LBB17_1709
; %bb.1702:
	v_and_b32_e32 v1, 0x7fffffff, v0
	s_mov_b32 s6, 0x47800000
	v_cmp_gt_u32_e32 vcc, s6, v1
	v_mov_b32_e32 v4, 0x80
	s_and_saveexec_b64 s[6:7], vcc
	s_cbranch_execz .LBB17_1708
; %bb.1703:
	s_mov_b32 s8, 0x37ffffff
	v_cmp_lt_u32_e32 vcc, s8, v1
	s_mov_b64 s[8:9], 0
                                        ; implicit-def: $vgpr1
	s_and_saveexec_b64 s[10:11], vcc
	s_xor_b64 s[10:11], exec, s[10:11]
	s_cbranch_execz .LBB17_1795
; %bb.1704:
	v_bfe_u32 v1, v0, 21, 1
	s_mov_b32 s12, 0x88fffff
	v_add3_u32 v1, v0, v1, s12
	s_mov_b64 s[8:9], exec
	v_lshrrev_b32_e32 v1, 21, v1
	s_or_saveexec_b64 s[10:11], s[10:11]
                                        ; implicit-def: $sgpr12
	s_xor_b64 exec, exec, s[10:11]
	s_cbranch_execnz .LBB17_1796
.LBB17_1705:
	s_or_b64 exec, exec, s[10:11]
	v_mov_b32_e32 v4, s12
	s_and_saveexec_b64 s[10:11], s[8:9]
.LBB17_1706:
	v_lshrrev_b32_e32 v4, 24, v0
	s_movk_i32 s8, 0x80
	v_and_or_b32 v4, v4, s8, v1
.LBB17_1707:
	s_or_b64 exec, exec, s[10:11]
.LBB17_1708:
	s_or_b64 exec, exec, s[6:7]
	s_mov_b64 s[6:7], 0
	global_store_byte v[2:3], v4, off
.LBB17_1709:
	s_and_b64 vcc, exec, s[6:7]
	s_cbranch_vccz .LBB17_1719
; %bb.1710:
	v_and_b32_e32 v4, 0x7fffffff, v0
	s_mov_b32 s6, 0x43f00000
	v_cmp_gt_u32_e32 vcc, s6, v4
                                        ; implicit-def: $vgpr1
	s_and_saveexec_b64 s[6:7], vcc
	s_xor_b64 s[6:7], exec, s[6:7]
	s_cbranch_execz .LBB17_1716
; %bb.1711:
	s_mov_b32 s8, 0x3c7fffff
	v_cmp_lt_u32_e32 vcc, s8, v4
                                        ; implicit-def: $vgpr1
	s_and_saveexec_b64 s[8:9], vcc
	s_xor_b64 s[8:9], exec, s[8:9]
; %bb.1712:
	v_bfe_u32 v1, v0, 20, 1
	s_mov_b32 s10, 0x407ffff
	v_add3_u32 v1, v0, v1, s10
	v_lshrrev_b32_e32 v4, 20, v1
	v_and_b32_e32 v1, 0xff00000, v1
	s_mov_b32 s10, 0x7f00000
	v_mov_b32_e32 v5, 0x7e
	v_cmp_ne_u32_e32 vcc, s10, v1
	v_cndmask_b32_e32 v1, v5, v4, vcc
; %bb.1713:
	s_andn2_saveexec_b64 s[8:9], s[8:9]
; %bb.1714:
	s_mov_b32 s10, 0x46800000
	v_add_f32_e64 v1, |v0|, s10
; %bb.1715:
	s_or_b64 exec, exec, s[8:9]
                                        ; implicit-def: $vgpr4
.LBB17_1716:
	s_andn2_saveexec_b64 s[6:7], s[6:7]
; %bb.1717:
	s_mov_b32 s8, 0x7f800000
	v_mov_b32_e32 v1, 0x7e
	v_mov_b32_e32 v5, 0x7f
	v_cmp_lt_u32_e32 vcc, s8, v4
	v_cndmask_b32_e32 v1, v1, v5, vcc
; %bb.1718:
	s_or_b64 exec, exec, s[6:7]
	v_lshrrev_b32_e32 v4, 24, v0
	s_movk_i32 s6, 0x80
	v_and_or_b32 v1, v4, s6, v1
	global_store_byte v[2:3], v1, off
.LBB17_1719:
	s_mov_b64 s[6:7], 0
.LBB17_1720:
	s_andn2_b64 vcc, exec, s[6:7]
	s_cbranch_vccnz .LBB17_1730
; %bb.1721:
	v_and_b32_e32 v4, 0x7fffffff, v0
	s_mov_b32 s6, 0x47800000
	v_cmp_gt_u32_e32 vcc, s6, v4
                                        ; implicit-def: $vgpr1
	s_and_saveexec_b64 s[6:7], vcc
	s_xor_b64 s[6:7], exec, s[6:7]
	s_cbranch_execz .LBB17_1727
; %bb.1722:
	s_mov_b32 s8, 0x387fffff
	v_cmp_lt_u32_e32 vcc, s8, v4
                                        ; implicit-def: $vgpr1
	s_and_saveexec_b64 s[8:9], vcc
	s_xor_b64 s[8:9], exec, s[8:9]
; %bb.1723:
	v_bfe_u32 v1, v0, 21, 1
	s_mov_b32 s10, 0x80fffff
	v_add3_u32 v1, v0, v1, s10
	v_lshrrev_b32_e32 v1, 21, v1
; %bb.1724:
	s_andn2_saveexec_b64 s[8:9], s[8:9]
; %bb.1725:
	s_mov_b32 s10, 0x43000000
	v_add_f32_e64 v1, |v0|, s10
; %bb.1726:
	s_or_b64 exec, exec, s[8:9]
                                        ; implicit-def: $vgpr4
.LBB17_1727:
	s_andn2_saveexec_b64 s[6:7], s[6:7]
; %bb.1728:
	s_mov_b32 s8, 0x7f800000
	v_mov_b32_e32 v1, 0x7c
	v_mov_b32_e32 v5, 0x7f
	v_cmp_lt_u32_e32 vcc, s8, v4
	v_cndmask_b32_e32 v1, v1, v5, vcc
; %bb.1729:
	s_or_b64 exec, exec, s[6:7]
	v_lshrrev_b32_e32 v4, 24, v0
	s_movk_i32 s6, 0x80
	v_and_or_b32 v1, v4, s6, v1
	global_store_byte v[2:3], v1, off
.LBB17_1730:
	s_mov_b64 s[6:7], 0
	s_mov_b64 s[8:9], -1
.LBB17_1731:
	s_andn2_b64 vcc, exec, s[6:7]
	s_mov_b64 s[6:7], 0
	s_cbranch_vccnz .LBB17_1738
; %bb.1732:
	v_mov_b32_e32 v1, 14
	v_cmp_gt_i16_sdwa s[6:7], s38, v1 src0_sel:BYTE_0 src1_sel:DWORD
	s_mov_b64 s[10:11], -1
	s_and_b64 vcc, exec, s[6:7]
	s_cbranch_vccz .LBB17_1736
; %bb.1733:
	v_mov_b32_e32 v1, 15
	v_cmp_eq_u16_sdwa s[6:7], s38, v1 src0_sel:BYTE_0 src1_sel:DWORD
	s_mov_b64 s[4:5], -1
	s_and_b64 vcc, exec, s[6:7]
	s_cbranch_vccz .LBB17_1735
; %bb.1734:
	v_bfe_u32 v1, v0, 16, 1
	s_movk_i32 s4, 0x7fff
	v_add3_u32 v1, v0, v1, s4
	v_lshrrev_b32_e32 v1, 16, v1
	v_mov_b32_e32 v4, 0x7fc0
	v_cmp_o_f32_e32 vcc, v0, v0
	v_cndmask_b32_e32 v1, v4, v1, vcc
	global_store_short v[2:3], v1, off
	s_mov_b64 s[4:5], 0
	s_mov_b64 s[8:9], -1
.LBB17_1735:
	s_mov_b64 s[10:11], 0
.LBB17_1736:
	s_mov_b64 s[6:7], 0
	s_and_b64 vcc, exec, s[10:11]
	s_cbranch_vccz .LBB17_1738
; %bb.1737:
	v_mov_b32_e32 v1, 11
	v_cmp_ne_u16_sdwa s[4:5], s38, v1 src0_sel:BYTE_0 src1_sel:DWORD
	s_mov_b64 s[6:7], -1
.LBB17_1738:
	s_and_b64 vcc, exec, s[4:5]
	s_cbranch_vccnz .LBB17_1794
; %bb.1739:
	s_andn2_b64 vcc, exec, s[6:7]
	s_cbranch_vccnz .LBB17_1741
.LBB17_1740:
	v_cmp_neq_f32_e32 vcc, 0, v0
	v_cndmask_b32_e64 v1, 0, 1, vcc
	s_mov_b64 s[8:9], -1
	global_store_byte v[2:3], v1, off
.LBB17_1741:
	s_mov_b64 s[4:5], 0
.LBB17_1742:
	s_and_b64 vcc, exec, s[4:5]
	s_cbranch_vccz .LBB17_1781
; %bb.1743:
	v_mov_b32_e32 v1, 5
	v_cmp_lt_i16_sdwa s[6:7], s38, v1 src0_sel:BYTE_0 src1_sel:DWORD
	s_mov_b64 s[4:5], -1
	s_and_b64 vcc, exec, s[6:7]
	s_cbranch_vccnz .LBB17_1764
; %bb.1744:
	v_mov_b32_e32 v1, 8
	v_cmp_lt_i16_sdwa s[6:7], s38, v1 src0_sel:BYTE_0 src1_sel:DWORD
	s_and_b64 vcc, exec, s[6:7]
	s_cbranch_vccnz .LBB17_1754
; %bb.1745:
	v_mov_b32_e32 v1, 9
	v_cmp_lt_i16_sdwa s[6:7], s38, v1 src0_sel:BYTE_0 src1_sel:DWORD
	s_and_b64 vcc, exec, s[6:7]
	s_cbranch_vccnz .LBB17_1751
; %bb.1746:
	v_cmp_gt_i16_sdwa s[6:7], s38, v1 src0_sel:BYTE_0 src1_sel:DWORD
	s_and_b64 vcc, exec, s[6:7]
	s_cbranch_vccz .LBB17_1748
; %bb.1747:
	v_mov_b32_e32 v6, 0
	v_cvt_f64_f32_e32 v[4:5], v0
	v_mov_b32_e32 v7, v6
	global_store_dwordx4 v[2:3], v[4:7], off
	s_mov_b64 s[4:5], 0
.LBB17_1748:
	s_andn2_b64 vcc, exec, s[4:5]
	s_cbranch_vccnz .LBB17_1750
; %bb.1749:
	v_mov_b32_e32 v1, 0
	global_store_dwordx2 v[2:3], v[0:1], off
.LBB17_1750:
	s_mov_b64 s[4:5], 0
.LBB17_1751:
	s_andn2_b64 vcc, exec, s[4:5]
	s_cbranch_vccnz .LBB17_1753
; %bb.1752:
	v_cvt_f16_f32_e32 v1, v0
	global_store_dword v[2:3], v1, off
.LBB17_1753:
	s_mov_b64 s[4:5], 0
.LBB17_1754:
	s_andn2_b64 vcc, exec, s[4:5]
	s_cbranch_vccnz .LBB17_1763
; %bb.1755:
	v_mov_b32_e32 v1, 6
	v_cmp_lt_i16_sdwa s[6:7], s38, v1 src0_sel:BYTE_0 src1_sel:DWORD
	s_mov_b64 s[4:5], -1
	s_and_b64 vcc, exec, s[6:7]
	s_cbranch_vccnz .LBB17_1761
; %bb.1756:
	v_cmp_gt_i16_sdwa s[6:7], s38, v1 src0_sel:BYTE_0 src1_sel:DWORD
	s_and_b64 vcc, exec, s[6:7]
	s_cbranch_vccz .LBB17_1758
; %bb.1757:
	v_cvt_f64_f32_e32 v[4:5], v0
	global_store_dwordx2 v[2:3], v[4:5], off
	s_mov_b64 s[4:5], 0
.LBB17_1758:
	s_andn2_b64 vcc, exec, s[4:5]
	s_cbranch_vccnz .LBB17_1760
; %bb.1759:
	global_store_dword v[2:3], v0, off
.LBB17_1760:
	s_mov_b64 s[4:5], 0
.LBB17_1761:
	s_andn2_b64 vcc, exec, s[4:5]
	s_cbranch_vccnz .LBB17_1763
; %bb.1762:
	v_cvt_f16_f32_e32 v1, v0
	global_store_short v[2:3], v1, off
.LBB17_1763:
	s_mov_b64 s[4:5], 0
.LBB17_1764:
	s_andn2_b64 vcc, exec, s[4:5]
	s_cbranch_vccnz .LBB17_1780
; %bb.1765:
	v_mov_b32_e32 v1, 2
	v_cmp_lt_i16_sdwa s[6:7], s38, v1 src0_sel:BYTE_0 src1_sel:DWORD
	s_mov_b64 s[4:5], -1
	s_and_b64 vcc, exec, s[6:7]
	s_cbranch_vccnz .LBB17_1775
; %bb.1766:
	v_mov_b32_e32 v1, 3
	v_cmp_lt_i16_sdwa s[6:7], s38, v1 src0_sel:BYTE_0 src1_sel:DWORD
	s_and_b64 vcc, exec, s[6:7]
	s_cbranch_vccnz .LBB17_1772
; %bb.1767:
	v_cmp_gt_i16_sdwa s[6:7], s38, v1 src0_sel:BYTE_0 src1_sel:DWORD
	s_and_b64 vcc, exec, s[6:7]
	s_cbranch_vccz .LBB17_1769
; %bb.1768:
	v_trunc_f32_e32 v1, v0
	s_mov_b32 s4, 0x2f800000
	v_mul_f32_e64 v4, |v1|, s4
	v_floor_f32_e32 v4, v4
	s_mov_b32 s4, 0xcf800000
	v_cvt_u32_f32_e32 v5, v4
	v_fma_f32 v4, v4, s4, |v1|
	v_cvt_u32_f32_e32 v4, v4
	v_ashrrev_i32_e32 v1, 31, v1
	v_xor_b32_e32 v5, v5, v1
	s_mov_b64 s[4:5], 0
	v_xor_b32_e32 v4, v4, v1
	v_sub_co_u32_e32 v4, vcc, v4, v1
	v_subb_co_u32_e32 v5, vcc, v5, v1, vcc
	global_store_dwordx2 v[2:3], v[4:5], off
.LBB17_1769:
	s_andn2_b64 vcc, exec, s[4:5]
	s_cbranch_vccnz .LBB17_1771
; %bb.1770:
	v_cvt_i32_f32_e32 v1, v0
	global_store_dword v[2:3], v1, off
.LBB17_1771:
	s_mov_b64 s[4:5], 0
.LBB17_1772:
	s_andn2_b64 vcc, exec, s[4:5]
	s_cbranch_vccnz .LBB17_1774
; %bb.1773:
	v_cvt_i32_f32_e32 v1, v0
	global_store_short v[2:3], v1, off
.LBB17_1774:
	s_mov_b64 s[4:5], 0
.LBB17_1775:
	s_andn2_b64 vcc, exec, s[4:5]
	s_cbranch_vccnz .LBB17_1780
; %bb.1776:
	v_mov_b32_e32 v1, 0
	v_cmp_gt_i16_sdwa s[6:7], s38, v1 src0_sel:BYTE_0 src1_sel:DWORD
	s_mov_b64 s[4:5], -1
	s_and_b64 vcc, exec, s[6:7]
	s_cbranch_vccz .LBB17_1778
; %bb.1777:
	v_cvt_i32_f32_e32 v1, v0
	s_mov_b64 s[4:5], 0
	global_store_byte v[2:3], v1, off
.LBB17_1778:
	s_andn2_b64 vcc, exec, s[4:5]
	s_cbranch_vccnz .LBB17_1780
; %bb.1779:
	v_trunc_f32_e32 v0, v0
	s_mov_b32 s4, 0x2f800000
	v_mul_f32_e64 v1, |v0|, s4
	v_floor_f32_e32 v1, v1
	s_mov_b32 s4, 0xcf800000
	v_fma_f32 v1, v1, s4, |v0|
	v_cvt_u32_f32_e32 v1, v1
	v_ashrrev_i32_e32 v0, 31, v0
	v_xor_b32_e32 v1, v1, v0
	v_sub_u32_e32 v0, v1, v0
	global_store_byte v[2:3], v0, off
.LBB17_1780:
	s_mov_b64 s[8:9], -1
.LBB17_1781:
	s_andn2_b64 vcc, exec, s[8:9]
	s_cbranch_vccnz .LBB17_2112
; %bb.1782:
	v_mov_b32_e32 v0, v41
	s_getpc_b64 s[4:5]
	s_add_u32 s4, s4, _Z17bessel_j1_forwardIfET_S0_@rel32@lo+4
	s_addc_u32 s5, s5, _Z17bessel_j1_forwardIfET_S0_@rel32@hi+12
	s_swappc_b64 s[30:31], s[4:5]
	v_mov_b32_e32 v1, s41
	v_add_co_u32_e32 v2, vcc, s40, v56
	v_addc_co_u32_e32 v3, vcc, 0, v1, vcc
	v_mov_b32_e32 v1, 11
	v_cmp_lt_i16_sdwa s[4:5], s38, v1 src0_sel:BYTE_0 src1_sel:DWORD
	s_and_b64 vcc, exec, s[4:5]
	s_cbranch_vccnz .LBB17_1789
; %bb.1783:
	v_mov_b32_e32 v1, 25
	v_cmp_gt_i16_sdwa s[4:5], s38, v1 src0_sel:BYTE_0 src1_sel:DWORD
	s_mov_b64 s[10:11], -1
	s_mov_b64 s[6:7], 0
	s_and_b64 vcc, exec, s[4:5]
	s_mov_b64 s[8:9], 0
	s_mov_b64 s[4:5], 0
	s_cbranch_vccz .LBB17_1825
; %bb.1784:
	v_mov_b32_e32 v1, 28
	v_cmp_gt_i16_sdwa s[4:5], s38, v1 src0_sel:BYTE_0 src1_sel:DWORD
	s_and_b64 vcc, exec, s[4:5]
	s_cbranch_vccz .LBB17_1790
; %bb.1785:
	v_mov_b32_e32 v1, 43
	v_cmp_gt_i16_sdwa s[4:5], s38, v1 src0_sel:BYTE_0 src1_sel:DWORD
	s_and_b64 vcc, exec, s[4:5]
	;; [unrolled: 5-line block ×3, first 2 shown]
	s_cbranch_vccz .LBB17_1797
; %bb.1787:
	v_mov_b32_e32 v1, 46
	v_cmp_eq_u16_sdwa s[8:9], s38, v1 src0_sel:BYTE_0 src1_sel:DWORD
	s_mov_b64 s[4:5], -1
	s_mov_b64 s[10:11], 0
	s_and_b64 vcc, exec, s[8:9]
	s_mov_b64 s[8:9], 0
	s_cbranch_vccz .LBB17_1798
; %bb.1788:
	v_bfe_u32 v1, v0, 16, 1
	s_movk_i32 s4, 0x7fff
	v_add3_u32 v1, v0, v1, s4
	v_lshrrev_b32_e32 v1, 16, v1
	v_mov_b32_e32 v4, 0x7fc0
	v_cmp_o_f32_e32 vcc, v0, v0
	v_cndmask_b32_e32 v1, v4, v1, vcc
	global_store_dword v[2:3], v1, off
	s_mov_b64 s[4:5], 0
	s_mov_b64 s[8:9], -1
	s_branch .LBB17_1798
.LBB17_1789:
	s_mov_b64 s[4:5], -1
	s_mov_b64 s[8:9], 0
	s_branch .LBB17_1869
.LBB17_1790:
	s_mov_b64 s[4:5], 0
	s_branch .LBB17_1808
.LBB17_1791:
	s_or_saveexec_b64 s[12:13], s[12:13]
                                        ; implicit-def: $sgpr14
	s_xor_b64 exec, exec, s[12:13]
	s_cbranch_execz .LBB17_1692
.LBB17_1792:
	s_mov_b32 s14, 0x46000000
	v_add_f32_e64 v1, |v0|, s14
	v_and_b32_e32 v1, 0xff, v1
	v_cmp_ne_u32_e32 vcc, 0, v1
	s_andn2_b64 s[10:11], s[10:11], exec
	s_and_b64 s[16:17], vcc, exec
	s_mov_b32 s14, 0
	s_or_b64 s[10:11], s[10:11], s[16:17]
	s_or_b64 exec, exec, s[12:13]
	v_mov_b32_e32 v4, s14
	s_and_saveexec_b64 s[12:13], s[10:11]
	s_cbranch_execnz .LBB17_1693
	s_branch .LBB17_1694
.LBB17_1793:
	s_mov_b64 s[4:5], 0
	s_branch .LBB17_1804
.LBB17_1794:
	s_trap 2
	s_or_b64 s[36:37], s[36:37], exec
	s_cbranch_execz .LBB17_1740
	s_branch .LBB17_1741
.LBB17_1795:
	s_or_saveexec_b64 s[10:11], s[10:11]
                                        ; implicit-def: $sgpr12
	s_xor_b64 exec, exec, s[10:11]
	s_cbranch_execz .LBB17_1705
.LBB17_1796:
	s_mov_b32 s12, 0x42800000
	v_add_f32_e64 v1, |v0|, s12
	v_and_b32_e32 v1, 0xff, v1
	v_cmp_ne_u32_e32 vcc, 0, v1
	s_andn2_b64 s[8:9], s[8:9], exec
	s_and_b64 s[14:15], vcc, exec
	s_mov_b32 s12, 0
	s_or_b64 s[8:9], s[8:9], s[14:15]
	s_or_b64 exec, exec, s[10:11]
	v_mov_b32_e32 v4, s12
	s_and_saveexec_b64 s[10:11], s[8:9]
	s_cbranch_execnz .LBB17_1706
	s_branch .LBB17_1707
.LBB17_1797:
	s_mov_b64 s[4:5], 0
.LBB17_1798:
	s_and_b64 vcc, exec, s[10:11]
	s_cbranch_vccz .LBB17_1803
; %bb.1799:
	v_mov_b32_e32 v1, 44
	v_cmp_eq_u16_sdwa s[10:11], s38, v1 src0_sel:BYTE_0 src1_sel:DWORD
	s_mov_b64 s[4:5], -1
	s_and_b64 vcc, exec, s[10:11]
	s_cbranch_vccz .LBB17_1803
; %bb.1800:
	v_bfe_u32 v1, v0, 23, 8
	s_movk_i32 s4, 0xff
	v_cmp_ne_u32_e32 vcc, s4, v1
	v_mov_b32_e32 v4, 0xff
	s_and_saveexec_b64 s[8:9], vcc
; %bb.1801:
	s_mov_b32 s4, 0x3fffff
	v_and_b32_e32 v5, 0x400000, v0
	v_and_or_b32 v1, v0, s4, v1
	v_cmp_ne_u32_e32 vcc, 0, v5
	v_cmp_ne_u32_e64 s[4:5], 0, v1
	s_and_b64 s[4:5], vcc, s[4:5]
	v_lshrrev_b32_e32 v4, 23, v0
	v_cndmask_b32_e64 v1, 0, 1, s[4:5]
	v_add_u32_e32 v4, v4, v1
; %bb.1802:
	s_or_b64 exec, exec, s[8:9]
	s_mov_b64 s[4:5], 0
	s_mov_b64 s[8:9], -1
	global_store_byte v[2:3], v4, off
.LBB17_1803:
	s_mov_b64 s[10:11], 0
.LBB17_1804:
	s_and_b64 vcc, exec, s[10:11]
	s_cbranch_vccz .LBB17_1807
; %bb.1805:
	v_mov_b32_e32 v1, 29
	v_cmp_eq_u16_sdwa s[10:11], s38, v1 src0_sel:BYTE_0 src1_sel:DWORD
	s_mov_b64 s[4:5], -1
	s_and_b64 vcc, exec, s[10:11]
	s_cbranch_vccz .LBB17_1807
; %bb.1806:
	v_trunc_f32_e32 v1, v0
	v_mul_f32_e32 v4, 0x2f800000, v1
	v_floor_f32_e32 v4, v4
	v_fmac_f32_e32 v1, 0xcf800000, v4
	v_cvt_u32_f32_e32 v5, v4
	v_cvt_u32_f32_e32 v4, v1
	s_mov_b64 s[4:5], 0
	s_mov_b64 s[8:9], -1
	s_mov_b64 s[10:11], 0
	global_store_dwordx2 v[2:3], v[4:5], off
	s_branch .LBB17_1808
.LBB17_1807:
	s_mov_b64 s[10:11], 0
.LBB17_1808:
	s_and_b64 vcc, exec, s[10:11]
	s_cbranch_vccz .LBB17_1824
; %bb.1809:
	v_mov_b32_e32 v1, 27
	v_cmp_lt_i16_sdwa s[10:11], s38, v1 src0_sel:BYTE_0 src1_sel:DWORD
	s_mov_b64 s[8:9], -1
	s_and_b64 vcc, exec, s[10:11]
	s_cbranch_vccnz .LBB17_1815
; %bb.1810:
	v_cmp_gt_i16_sdwa s[10:11], s38, v1 src0_sel:BYTE_0 src1_sel:DWORD
	s_and_b64 vcc, exec, s[10:11]
	s_cbranch_vccz .LBB17_1812
; %bb.1811:
	v_cvt_u32_f32_e32 v1, v0
	s_mov_b64 s[8:9], 0
	global_store_dword v[2:3], v1, off
.LBB17_1812:
	s_andn2_b64 vcc, exec, s[8:9]
	s_cbranch_vccnz .LBB17_1814
; %bb.1813:
	v_cvt_u32_f32_e32 v1, v0
	global_store_short v[2:3], v1, off
.LBB17_1814:
	s_mov_b64 s[8:9], 0
.LBB17_1815:
	s_andn2_b64 vcc, exec, s[8:9]
	s_cbranch_vccnz .LBB17_1823
; %bb.1816:
	v_and_b32_e32 v1, 0x7fffffff, v0
	s_mov_b32 s8, 0x43800000
	v_cmp_gt_u32_e32 vcc, s8, v1
	v_mov_b32_e32 v4, 0x80
	s_and_saveexec_b64 s[8:9], vcc
	s_cbranch_execz .LBB17_1822
; %bb.1817:
	s_mov_b32 s10, 0x3bffffff
	v_cmp_lt_u32_e32 vcc, s10, v1
	s_mov_b64 s[10:11], 0
                                        ; implicit-def: $vgpr1
	s_and_saveexec_b64 s[12:13], vcc
	s_xor_b64 s[12:13], exec, s[12:13]
	s_cbranch_execz .LBB17_1918
; %bb.1818:
	v_bfe_u32 v1, v0, 20, 1
	s_mov_b32 s14, 0x487ffff
	v_add3_u32 v1, v0, v1, s14
	s_mov_b64 s[10:11], exec
	v_lshrrev_b32_e32 v1, 20, v1
	s_or_saveexec_b64 s[12:13], s[12:13]
                                        ; implicit-def: $sgpr14
	s_xor_b64 exec, exec, s[12:13]
	s_cbranch_execnz .LBB17_1919
.LBB17_1819:
	s_or_b64 exec, exec, s[12:13]
	v_mov_b32_e32 v4, s14
	s_and_saveexec_b64 s[12:13], s[10:11]
.LBB17_1820:
	v_lshrrev_b32_e32 v4, 24, v0
	s_movk_i32 s10, 0x80
	v_and_or_b32 v4, v4, s10, v1
.LBB17_1821:
	s_or_b64 exec, exec, s[12:13]
.LBB17_1822:
	s_or_b64 exec, exec, s[8:9]
	global_store_byte v[2:3], v4, off
.LBB17_1823:
	s_mov_b64 s[8:9], -1
.LBB17_1824:
	s_mov_b64 s[10:11], 0
.LBB17_1825:
	s_and_b64 vcc, exec, s[10:11]
	s_cbranch_vccz .LBB17_1865
; %bb.1826:
	v_mov_b32_e32 v1, 22
	v_cmp_gt_i16_sdwa s[10:11], s38, v1 src0_sel:BYTE_0 src1_sel:DWORD
	s_mov_b64 s[6:7], -1
	s_and_b64 vcc, exec, s[10:11]
	s_cbranch_vccz .LBB17_1858
; %bb.1827:
	v_mov_b32_e32 v1, 24
	v_cmp_lt_i16_sdwa s[8:9], s38, v1 src0_sel:BYTE_0 src1_sel:DWORD
	s_and_b64 vcc, exec, s[8:9]
	s_cbranch_vccnz .LBB17_1847
; %bb.1828:
	v_cmp_gt_i16_sdwa s[8:9], s38, v1 src0_sel:BYTE_0 src1_sel:DWORD
	s_and_b64 vcc, exec, s[8:9]
	s_cbranch_vccz .LBB17_1836
; %bb.1829:
	v_and_b32_e32 v1, 0x7fffffff, v0
	s_mov_b32 s6, 0x47800000
	v_cmp_gt_u32_e32 vcc, s6, v1
	v_mov_b32_e32 v4, 0x80
	s_and_saveexec_b64 s[6:7], vcc
	s_cbranch_execz .LBB17_1835
; %bb.1830:
	s_mov_b32 s8, 0x37ffffff
	v_cmp_lt_u32_e32 vcc, s8, v1
	s_mov_b64 s[8:9], 0
                                        ; implicit-def: $vgpr1
	s_and_saveexec_b64 s[10:11], vcc
	s_xor_b64 s[10:11], exec, s[10:11]
	s_cbranch_execz .LBB17_1922
; %bb.1831:
	v_bfe_u32 v1, v0, 21, 1
	s_mov_b32 s12, 0x88fffff
	v_add3_u32 v1, v0, v1, s12
	s_mov_b64 s[8:9], exec
	v_lshrrev_b32_e32 v1, 21, v1
	s_or_saveexec_b64 s[10:11], s[10:11]
                                        ; implicit-def: $sgpr12
	s_xor_b64 exec, exec, s[10:11]
	s_cbranch_execnz .LBB17_1923
.LBB17_1832:
	s_or_b64 exec, exec, s[10:11]
	v_mov_b32_e32 v4, s12
	s_and_saveexec_b64 s[10:11], s[8:9]
.LBB17_1833:
	v_lshrrev_b32_e32 v4, 24, v0
	s_movk_i32 s8, 0x80
	v_and_or_b32 v4, v4, s8, v1
.LBB17_1834:
	s_or_b64 exec, exec, s[10:11]
.LBB17_1835:
	s_or_b64 exec, exec, s[6:7]
	s_mov_b64 s[6:7], 0
	global_store_byte v[2:3], v4, off
.LBB17_1836:
	s_and_b64 vcc, exec, s[6:7]
	s_cbranch_vccz .LBB17_1846
; %bb.1837:
	v_and_b32_e32 v4, 0x7fffffff, v0
	s_mov_b32 s6, 0x43f00000
	v_cmp_gt_u32_e32 vcc, s6, v4
                                        ; implicit-def: $vgpr1
	s_and_saveexec_b64 s[6:7], vcc
	s_xor_b64 s[6:7], exec, s[6:7]
	s_cbranch_execz .LBB17_1843
; %bb.1838:
	s_mov_b32 s8, 0x3c7fffff
	v_cmp_lt_u32_e32 vcc, s8, v4
                                        ; implicit-def: $vgpr1
	s_and_saveexec_b64 s[8:9], vcc
	s_xor_b64 s[8:9], exec, s[8:9]
; %bb.1839:
	v_bfe_u32 v1, v0, 20, 1
	s_mov_b32 s10, 0x407ffff
	v_add3_u32 v1, v0, v1, s10
	v_lshrrev_b32_e32 v4, 20, v1
	v_and_b32_e32 v1, 0xff00000, v1
	s_mov_b32 s10, 0x7f00000
	v_mov_b32_e32 v5, 0x7e
	v_cmp_ne_u32_e32 vcc, s10, v1
	v_cndmask_b32_e32 v1, v5, v4, vcc
; %bb.1840:
	s_andn2_saveexec_b64 s[8:9], s[8:9]
; %bb.1841:
	s_mov_b32 s10, 0x46800000
	v_add_f32_e64 v1, |v0|, s10
; %bb.1842:
	s_or_b64 exec, exec, s[8:9]
                                        ; implicit-def: $vgpr4
.LBB17_1843:
	s_andn2_saveexec_b64 s[6:7], s[6:7]
; %bb.1844:
	s_mov_b32 s8, 0x7f800000
	v_mov_b32_e32 v1, 0x7e
	v_mov_b32_e32 v5, 0x7f
	v_cmp_lt_u32_e32 vcc, s8, v4
	v_cndmask_b32_e32 v1, v1, v5, vcc
; %bb.1845:
	s_or_b64 exec, exec, s[6:7]
	v_lshrrev_b32_e32 v4, 24, v0
	s_movk_i32 s6, 0x80
	v_and_or_b32 v1, v4, s6, v1
	global_store_byte v[2:3], v1, off
.LBB17_1846:
	s_mov_b64 s[6:7], 0
.LBB17_1847:
	s_andn2_b64 vcc, exec, s[6:7]
	s_cbranch_vccnz .LBB17_1857
; %bb.1848:
	v_and_b32_e32 v4, 0x7fffffff, v0
	s_mov_b32 s6, 0x47800000
	v_cmp_gt_u32_e32 vcc, s6, v4
                                        ; implicit-def: $vgpr1
	s_and_saveexec_b64 s[6:7], vcc
	s_xor_b64 s[6:7], exec, s[6:7]
	s_cbranch_execz .LBB17_1854
; %bb.1849:
	s_mov_b32 s8, 0x387fffff
	v_cmp_lt_u32_e32 vcc, s8, v4
                                        ; implicit-def: $vgpr1
	s_and_saveexec_b64 s[8:9], vcc
	s_xor_b64 s[8:9], exec, s[8:9]
; %bb.1850:
	v_bfe_u32 v1, v0, 21, 1
	s_mov_b32 s10, 0x80fffff
	v_add3_u32 v1, v0, v1, s10
	v_lshrrev_b32_e32 v1, 21, v1
; %bb.1851:
	s_andn2_saveexec_b64 s[8:9], s[8:9]
; %bb.1852:
	s_mov_b32 s10, 0x43000000
	v_add_f32_e64 v1, |v0|, s10
; %bb.1853:
	s_or_b64 exec, exec, s[8:9]
                                        ; implicit-def: $vgpr4
.LBB17_1854:
	s_andn2_saveexec_b64 s[6:7], s[6:7]
; %bb.1855:
	s_mov_b32 s8, 0x7f800000
	v_mov_b32_e32 v1, 0x7c
	v_mov_b32_e32 v5, 0x7f
	v_cmp_lt_u32_e32 vcc, s8, v4
	v_cndmask_b32_e32 v1, v1, v5, vcc
; %bb.1856:
	s_or_b64 exec, exec, s[6:7]
	v_lshrrev_b32_e32 v4, 24, v0
	s_movk_i32 s6, 0x80
	v_and_or_b32 v1, v4, s6, v1
	global_store_byte v[2:3], v1, off
.LBB17_1857:
	s_mov_b64 s[6:7], 0
	s_mov_b64 s[8:9], -1
.LBB17_1858:
	s_andn2_b64 vcc, exec, s[6:7]
	s_mov_b64 s[6:7], 0
	s_cbranch_vccnz .LBB17_1865
; %bb.1859:
	v_mov_b32_e32 v1, 14
	v_cmp_gt_i16_sdwa s[6:7], s38, v1 src0_sel:BYTE_0 src1_sel:DWORD
	s_mov_b64 s[10:11], -1
	s_and_b64 vcc, exec, s[6:7]
	s_cbranch_vccz .LBB17_1863
; %bb.1860:
	v_mov_b32_e32 v1, 15
	v_cmp_eq_u16_sdwa s[6:7], s38, v1 src0_sel:BYTE_0 src1_sel:DWORD
	s_mov_b64 s[4:5], -1
	s_and_b64 vcc, exec, s[6:7]
	s_cbranch_vccz .LBB17_1862
; %bb.1861:
	v_bfe_u32 v1, v0, 16, 1
	s_movk_i32 s4, 0x7fff
	v_add3_u32 v1, v0, v1, s4
	v_lshrrev_b32_e32 v1, 16, v1
	v_mov_b32_e32 v4, 0x7fc0
	v_cmp_o_f32_e32 vcc, v0, v0
	v_cndmask_b32_e32 v1, v4, v1, vcc
	global_store_short v[2:3], v1, off
	s_mov_b64 s[4:5], 0
	s_mov_b64 s[8:9], -1
.LBB17_1862:
	s_mov_b64 s[10:11], 0
.LBB17_1863:
	s_mov_b64 s[6:7], 0
	s_and_b64 vcc, exec, s[10:11]
	s_cbranch_vccz .LBB17_1865
; %bb.1864:
	v_mov_b32_e32 v1, 11
	v_cmp_ne_u16_sdwa s[4:5], s38, v1 src0_sel:BYTE_0 src1_sel:DWORD
	s_mov_b64 s[6:7], -1
.LBB17_1865:
	s_and_b64 vcc, exec, s[4:5]
	s_cbranch_vccnz .LBB17_1921
; %bb.1866:
	s_andn2_b64 vcc, exec, s[6:7]
	s_cbranch_vccnz .LBB17_1868
.LBB17_1867:
	v_cmp_neq_f32_e32 vcc, 0, v0
	v_cndmask_b32_e64 v1, 0, 1, vcc
	s_mov_b64 s[8:9], -1
	global_store_byte v[2:3], v1, off
.LBB17_1868:
	s_mov_b64 s[4:5], 0
.LBB17_1869:
	s_and_b64 vcc, exec, s[4:5]
	s_cbranch_vccz .LBB17_1908
; %bb.1870:
	v_mov_b32_e32 v1, 5
	v_cmp_lt_i16_sdwa s[6:7], s38, v1 src0_sel:BYTE_0 src1_sel:DWORD
	s_mov_b64 s[4:5], -1
	s_and_b64 vcc, exec, s[6:7]
	s_cbranch_vccnz .LBB17_1891
; %bb.1871:
	v_mov_b32_e32 v1, 8
	v_cmp_lt_i16_sdwa s[6:7], s38, v1 src0_sel:BYTE_0 src1_sel:DWORD
	s_and_b64 vcc, exec, s[6:7]
	s_cbranch_vccnz .LBB17_1881
; %bb.1872:
	v_mov_b32_e32 v1, 9
	v_cmp_lt_i16_sdwa s[6:7], s38, v1 src0_sel:BYTE_0 src1_sel:DWORD
	s_and_b64 vcc, exec, s[6:7]
	s_cbranch_vccnz .LBB17_1878
; %bb.1873:
	v_cmp_gt_i16_sdwa s[6:7], s38, v1 src0_sel:BYTE_0 src1_sel:DWORD
	s_and_b64 vcc, exec, s[6:7]
	s_cbranch_vccz .LBB17_1875
; %bb.1874:
	v_mov_b32_e32 v6, 0
	v_cvt_f64_f32_e32 v[4:5], v0
	v_mov_b32_e32 v7, v6
	global_store_dwordx4 v[2:3], v[4:7], off
	s_mov_b64 s[4:5], 0
.LBB17_1875:
	s_andn2_b64 vcc, exec, s[4:5]
	s_cbranch_vccnz .LBB17_1877
; %bb.1876:
	v_mov_b32_e32 v1, 0
	global_store_dwordx2 v[2:3], v[0:1], off
.LBB17_1877:
	s_mov_b64 s[4:5], 0
.LBB17_1878:
	s_andn2_b64 vcc, exec, s[4:5]
	s_cbranch_vccnz .LBB17_1880
; %bb.1879:
	v_cvt_f16_f32_e32 v1, v0
	global_store_dword v[2:3], v1, off
.LBB17_1880:
	s_mov_b64 s[4:5], 0
.LBB17_1881:
	s_andn2_b64 vcc, exec, s[4:5]
	s_cbranch_vccnz .LBB17_1890
; %bb.1882:
	v_mov_b32_e32 v1, 6
	v_cmp_lt_i16_sdwa s[6:7], s38, v1 src0_sel:BYTE_0 src1_sel:DWORD
	s_mov_b64 s[4:5], -1
	s_and_b64 vcc, exec, s[6:7]
	s_cbranch_vccnz .LBB17_1888
; %bb.1883:
	v_cmp_gt_i16_sdwa s[6:7], s38, v1 src0_sel:BYTE_0 src1_sel:DWORD
	s_and_b64 vcc, exec, s[6:7]
	s_cbranch_vccz .LBB17_1885
; %bb.1884:
	v_cvt_f64_f32_e32 v[4:5], v0
	global_store_dwordx2 v[2:3], v[4:5], off
	s_mov_b64 s[4:5], 0
.LBB17_1885:
	s_andn2_b64 vcc, exec, s[4:5]
	s_cbranch_vccnz .LBB17_1887
; %bb.1886:
	global_store_dword v[2:3], v0, off
.LBB17_1887:
	s_mov_b64 s[4:5], 0
.LBB17_1888:
	s_andn2_b64 vcc, exec, s[4:5]
	s_cbranch_vccnz .LBB17_1890
; %bb.1889:
	v_cvt_f16_f32_e32 v1, v0
	global_store_short v[2:3], v1, off
.LBB17_1890:
	s_mov_b64 s[4:5], 0
.LBB17_1891:
	s_andn2_b64 vcc, exec, s[4:5]
	s_cbranch_vccnz .LBB17_1907
; %bb.1892:
	v_mov_b32_e32 v1, 2
	v_cmp_lt_i16_sdwa s[6:7], s38, v1 src0_sel:BYTE_0 src1_sel:DWORD
	s_mov_b64 s[4:5], -1
	s_and_b64 vcc, exec, s[6:7]
	s_cbranch_vccnz .LBB17_1902
; %bb.1893:
	v_mov_b32_e32 v1, 3
	v_cmp_lt_i16_sdwa s[6:7], s38, v1 src0_sel:BYTE_0 src1_sel:DWORD
	s_and_b64 vcc, exec, s[6:7]
	s_cbranch_vccnz .LBB17_1899
; %bb.1894:
	v_cmp_gt_i16_sdwa s[6:7], s38, v1 src0_sel:BYTE_0 src1_sel:DWORD
	s_and_b64 vcc, exec, s[6:7]
	s_cbranch_vccz .LBB17_1896
; %bb.1895:
	v_trunc_f32_e32 v1, v0
	s_mov_b32 s4, 0x2f800000
	v_mul_f32_e64 v4, |v1|, s4
	v_floor_f32_e32 v4, v4
	s_mov_b32 s4, 0xcf800000
	v_cvt_u32_f32_e32 v5, v4
	v_fma_f32 v4, v4, s4, |v1|
	v_cvt_u32_f32_e32 v4, v4
	v_ashrrev_i32_e32 v1, 31, v1
	v_xor_b32_e32 v5, v5, v1
	s_mov_b64 s[4:5], 0
	v_xor_b32_e32 v4, v4, v1
	v_sub_co_u32_e32 v4, vcc, v4, v1
	v_subb_co_u32_e32 v5, vcc, v5, v1, vcc
	global_store_dwordx2 v[2:3], v[4:5], off
.LBB17_1896:
	s_andn2_b64 vcc, exec, s[4:5]
	s_cbranch_vccnz .LBB17_1898
; %bb.1897:
	v_cvt_i32_f32_e32 v1, v0
	global_store_dword v[2:3], v1, off
.LBB17_1898:
	s_mov_b64 s[4:5], 0
.LBB17_1899:
	s_andn2_b64 vcc, exec, s[4:5]
	s_cbranch_vccnz .LBB17_1901
; %bb.1900:
	v_cvt_i32_f32_e32 v1, v0
	global_store_short v[2:3], v1, off
.LBB17_1901:
	s_mov_b64 s[4:5], 0
.LBB17_1902:
	s_andn2_b64 vcc, exec, s[4:5]
	s_cbranch_vccnz .LBB17_1907
; %bb.1903:
	v_mov_b32_e32 v1, 0
	v_cmp_gt_i16_sdwa s[6:7], s38, v1 src0_sel:BYTE_0 src1_sel:DWORD
	s_mov_b64 s[4:5], -1
	s_and_b64 vcc, exec, s[6:7]
	s_cbranch_vccz .LBB17_1905
; %bb.1904:
	v_cvt_i32_f32_e32 v1, v0
	s_mov_b64 s[4:5], 0
	global_store_byte v[2:3], v1, off
.LBB17_1905:
	s_andn2_b64 vcc, exec, s[4:5]
	s_cbranch_vccnz .LBB17_1907
; %bb.1906:
	v_trunc_f32_e32 v0, v0
	s_mov_b32 s4, 0x2f800000
	v_mul_f32_e64 v1, |v0|, s4
	v_floor_f32_e32 v1, v1
	s_mov_b32 s4, 0xcf800000
	v_fma_f32 v1, v1, s4, |v0|
	v_cvt_u32_f32_e32 v1, v1
	v_ashrrev_i32_e32 v0, 31, v0
	v_xor_b32_e32 v1, v1, v0
	v_sub_u32_e32 v0, v1, v0
	global_store_byte v[2:3], v0, off
.LBB17_1907:
	s_mov_b64 s[8:9], -1
.LBB17_1908:
	s_andn2_b64 vcc, exec, s[8:9]
	s_cbranch_vccnz .LBB17_2112
; %bb.1909:
	v_mov_b32_e32 v0, v42
	s_getpc_b64 s[4:5]
	s_add_u32 s4, s4, _Z17bessel_j1_forwardIfET_S0_@rel32@lo+4
	s_addc_u32 s5, s5, _Z17bessel_j1_forwardIfET_S0_@rel32@hi+12
	s_swappc_b64 s[30:31], s[4:5]
	v_mov_b32_e32 v1, s41
	v_add_co_u32_e32 v2, vcc, s40, v46
	v_addc_co_u32_e32 v3, vcc, 0, v1, vcc
	v_mov_b32_e32 v1, 11
	v_cmp_lt_i16_sdwa s[4:5], s38, v1 src0_sel:BYTE_0 src1_sel:DWORD
	s_and_b64 vcc, exec, s[4:5]
	s_cbranch_vccnz .LBB17_1916
; %bb.1910:
	v_mov_b32_e32 v1, 25
	v_cmp_gt_i16_sdwa s[4:5], s38, v1 src0_sel:BYTE_0 src1_sel:DWORD
	s_mov_b64 s[10:11], -1
	s_mov_b64 s[6:7], 0
	s_and_b64 vcc, exec, s[4:5]
	s_mov_b64 s[8:9], 0
	s_mov_b64 s[4:5], 0
	s_cbranch_vccz .LBB17_1952
; %bb.1911:
	v_mov_b32_e32 v1, 28
	v_cmp_gt_i16_sdwa s[4:5], s38, v1 src0_sel:BYTE_0 src1_sel:DWORD
	s_and_b64 vcc, exec, s[4:5]
	s_cbranch_vccz .LBB17_1917
; %bb.1912:
	v_mov_b32_e32 v1, 43
	v_cmp_gt_i16_sdwa s[4:5], s38, v1 src0_sel:BYTE_0 src1_sel:DWORD
	s_and_b64 vcc, exec, s[4:5]
	;; [unrolled: 5-line block ×3, first 2 shown]
	s_cbranch_vccz .LBB17_1924
; %bb.1914:
	v_mov_b32_e32 v1, 46
	v_cmp_eq_u16_sdwa s[8:9], s38, v1 src0_sel:BYTE_0 src1_sel:DWORD
	s_mov_b64 s[4:5], -1
	s_mov_b64 s[10:11], 0
	s_and_b64 vcc, exec, s[8:9]
	s_mov_b64 s[8:9], 0
	s_cbranch_vccz .LBB17_1925
; %bb.1915:
	v_bfe_u32 v1, v0, 16, 1
	s_movk_i32 s4, 0x7fff
	v_add3_u32 v1, v0, v1, s4
	v_lshrrev_b32_e32 v1, 16, v1
	v_mov_b32_e32 v4, 0x7fc0
	v_cmp_o_f32_e32 vcc, v0, v0
	v_cndmask_b32_e32 v1, v4, v1, vcc
	global_store_dword v[2:3], v1, off
	s_mov_b64 s[4:5], 0
	s_mov_b64 s[8:9], -1
	s_branch .LBB17_1925
.LBB17_1916:
	s_mov_b64 s[4:5], -1
	s_mov_b64 s[8:9], 0
	s_branch .LBB17_1996
.LBB17_1917:
	s_mov_b64 s[4:5], 0
	s_branch .LBB17_1935
.LBB17_1918:
	s_or_saveexec_b64 s[12:13], s[12:13]
                                        ; implicit-def: $sgpr14
	s_xor_b64 exec, exec, s[12:13]
	s_cbranch_execz .LBB17_1819
.LBB17_1919:
	s_mov_b32 s14, 0x46000000
	v_add_f32_e64 v1, |v0|, s14
	v_and_b32_e32 v1, 0xff, v1
	v_cmp_ne_u32_e32 vcc, 0, v1
	s_andn2_b64 s[10:11], s[10:11], exec
	s_and_b64 s[16:17], vcc, exec
	s_mov_b32 s14, 0
	s_or_b64 s[10:11], s[10:11], s[16:17]
	s_or_b64 exec, exec, s[12:13]
	v_mov_b32_e32 v4, s14
	s_and_saveexec_b64 s[12:13], s[10:11]
	s_cbranch_execnz .LBB17_1820
	s_branch .LBB17_1821
.LBB17_1920:
	s_mov_b64 s[4:5], 0
	s_branch .LBB17_1931
.LBB17_1921:
	s_trap 2
	s_or_b64 s[36:37], s[36:37], exec
	s_cbranch_execz .LBB17_1867
	s_branch .LBB17_1868
.LBB17_1922:
	s_or_saveexec_b64 s[10:11], s[10:11]
                                        ; implicit-def: $sgpr12
	s_xor_b64 exec, exec, s[10:11]
	s_cbranch_execz .LBB17_1832
.LBB17_1923:
	s_mov_b32 s12, 0x42800000
	v_add_f32_e64 v1, |v0|, s12
	v_and_b32_e32 v1, 0xff, v1
	v_cmp_ne_u32_e32 vcc, 0, v1
	s_andn2_b64 s[8:9], s[8:9], exec
	s_and_b64 s[14:15], vcc, exec
	s_mov_b32 s12, 0
	s_or_b64 s[8:9], s[8:9], s[14:15]
	s_or_b64 exec, exec, s[10:11]
	v_mov_b32_e32 v4, s12
	s_and_saveexec_b64 s[10:11], s[8:9]
	s_cbranch_execnz .LBB17_1833
	s_branch .LBB17_1834
.LBB17_1924:
	s_mov_b64 s[4:5], 0
.LBB17_1925:
	s_and_b64 vcc, exec, s[10:11]
	s_cbranch_vccz .LBB17_1930
; %bb.1926:
	v_mov_b32_e32 v1, 44
	v_cmp_eq_u16_sdwa s[10:11], s38, v1 src0_sel:BYTE_0 src1_sel:DWORD
	s_mov_b64 s[4:5], -1
	s_and_b64 vcc, exec, s[10:11]
	s_cbranch_vccz .LBB17_1930
; %bb.1927:
	v_bfe_u32 v1, v0, 23, 8
	s_movk_i32 s4, 0xff
	v_cmp_ne_u32_e32 vcc, s4, v1
	v_mov_b32_e32 v4, 0xff
	s_and_saveexec_b64 s[8:9], vcc
; %bb.1928:
	s_mov_b32 s4, 0x3fffff
	v_and_b32_e32 v5, 0x400000, v0
	v_and_or_b32 v1, v0, s4, v1
	v_cmp_ne_u32_e32 vcc, 0, v5
	v_cmp_ne_u32_e64 s[4:5], 0, v1
	s_and_b64 s[4:5], vcc, s[4:5]
	v_lshrrev_b32_e32 v4, 23, v0
	v_cndmask_b32_e64 v1, 0, 1, s[4:5]
	v_add_u32_e32 v4, v4, v1
; %bb.1929:
	s_or_b64 exec, exec, s[8:9]
	s_mov_b64 s[4:5], 0
	s_mov_b64 s[8:9], -1
	global_store_byte v[2:3], v4, off
.LBB17_1930:
	s_mov_b64 s[10:11], 0
.LBB17_1931:
	s_and_b64 vcc, exec, s[10:11]
	s_cbranch_vccz .LBB17_1934
; %bb.1932:
	v_mov_b32_e32 v1, 29
	v_cmp_eq_u16_sdwa s[10:11], s38, v1 src0_sel:BYTE_0 src1_sel:DWORD
	s_mov_b64 s[4:5], -1
	s_and_b64 vcc, exec, s[10:11]
	s_cbranch_vccz .LBB17_1934
; %bb.1933:
	v_trunc_f32_e32 v1, v0
	v_mul_f32_e32 v4, 0x2f800000, v1
	v_floor_f32_e32 v4, v4
	v_fmac_f32_e32 v1, 0xcf800000, v4
	v_cvt_u32_f32_e32 v5, v4
	v_cvt_u32_f32_e32 v4, v1
	s_mov_b64 s[4:5], 0
	s_mov_b64 s[8:9], -1
	s_mov_b64 s[10:11], 0
	global_store_dwordx2 v[2:3], v[4:5], off
	s_branch .LBB17_1935
.LBB17_1934:
	s_mov_b64 s[10:11], 0
.LBB17_1935:
	s_and_b64 vcc, exec, s[10:11]
	s_cbranch_vccz .LBB17_1951
; %bb.1936:
	v_mov_b32_e32 v1, 27
	v_cmp_lt_i16_sdwa s[10:11], s38, v1 src0_sel:BYTE_0 src1_sel:DWORD
	s_mov_b64 s[8:9], -1
	s_and_b64 vcc, exec, s[10:11]
	s_cbranch_vccnz .LBB17_1942
; %bb.1937:
	v_cmp_gt_i16_sdwa s[10:11], s38, v1 src0_sel:BYTE_0 src1_sel:DWORD
	v_cvt_u32_f32_e32 v1, v0
	s_and_b64 vcc, exec, s[10:11]
	s_cbranch_vccz .LBB17_1939
; %bb.1938:
	s_mov_b64 s[8:9], 0
	global_store_dword v[2:3], v1, off
.LBB17_1939:
	s_andn2_b64 vcc, exec, s[8:9]
	s_cbranch_vccnz .LBB17_1941
; %bb.1940:
	global_store_short v[2:3], v1, off
.LBB17_1941:
	s_mov_b64 s[8:9], 0
.LBB17_1942:
	s_andn2_b64 vcc, exec, s[8:9]
	s_cbranch_vccnz .LBB17_1950
; %bb.1943:
	v_and_b32_e32 v1, 0x7fffffff, v0
	s_mov_b32 s8, 0x43800000
	v_cmp_gt_u32_e32 vcc, s8, v1
	v_mov_b32_e32 v4, 0x80
	s_and_saveexec_b64 s[8:9], vcc
	s_cbranch_execz .LBB17_1949
; %bb.1944:
	s_mov_b32 s10, 0x3bffffff
	v_cmp_lt_u32_e32 vcc, s10, v1
	s_mov_b64 s[10:11], 0
                                        ; implicit-def: $vgpr1
	s_and_saveexec_b64 s[12:13], vcc
	s_xor_b64 s[12:13], exec, s[12:13]
	s_cbranch_execz .LBB17_2158
; %bb.1945:
	v_bfe_u32 v1, v0, 20, 1
	s_mov_b32 s14, 0x487ffff
	v_add3_u32 v1, v0, v1, s14
	s_mov_b64 s[10:11], exec
	v_lshrrev_b32_e32 v1, 20, v1
	s_or_saveexec_b64 s[12:13], s[12:13]
                                        ; implicit-def: $sgpr14
	s_xor_b64 exec, exec, s[12:13]
	s_cbranch_execnz .LBB17_2159
.LBB17_1946:
	s_or_b64 exec, exec, s[12:13]
	v_mov_b32_e32 v4, s14
	s_and_saveexec_b64 s[12:13], s[10:11]
.LBB17_1947:
	v_lshrrev_b32_e32 v4, 24, v0
	s_movk_i32 s10, 0x80
	v_and_or_b32 v4, v4, s10, v1
.LBB17_1948:
	s_or_b64 exec, exec, s[12:13]
.LBB17_1949:
	s_or_b64 exec, exec, s[8:9]
	global_store_byte v[2:3], v4, off
.LBB17_1950:
	s_mov_b64 s[8:9], -1
.LBB17_1951:
	s_mov_b64 s[10:11], 0
.LBB17_1952:
	s_and_b64 vcc, exec, s[10:11]
	s_cbranch_vccz .LBB17_1992
; %bb.1953:
	v_mov_b32_e32 v1, 22
	v_cmp_gt_i16_sdwa s[10:11], s38, v1 src0_sel:BYTE_0 src1_sel:DWORD
	s_mov_b64 s[6:7], -1
	s_and_b64 vcc, exec, s[10:11]
	s_cbranch_vccz .LBB17_1985
; %bb.1954:
	v_mov_b32_e32 v1, 24
	v_cmp_lt_i16_sdwa s[8:9], s38, v1 src0_sel:BYTE_0 src1_sel:DWORD
	s_and_b64 vcc, exec, s[8:9]
	s_cbranch_vccnz .LBB17_1974
; %bb.1955:
	v_cmp_gt_i16_sdwa s[8:9], s38, v1 src0_sel:BYTE_0 src1_sel:DWORD
	s_and_b64 vcc, exec, s[8:9]
	s_cbranch_vccz .LBB17_1963
; %bb.1956:
	v_and_b32_e32 v1, 0x7fffffff, v0
	s_mov_b32 s6, 0x47800000
	v_cmp_gt_u32_e32 vcc, s6, v1
	v_mov_b32_e32 v4, 0x80
	s_and_saveexec_b64 s[6:7], vcc
	s_cbranch_execz .LBB17_1962
; %bb.1957:
	s_mov_b32 s8, 0x37ffffff
	v_cmp_lt_u32_e32 vcc, s8, v1
	s_mov_b64 s[8:9], 0
                                        ; implicit-def: $vgpr1
	s_and_saveexec_b64 s[10:11], vcc
	s_xor_b64 s[10:11], exec, s[10:11]
	s_cbranch_execz .LBB17_2161
; %bb.1958:
	v_bfe_u32 v1, v0, 21, 1
	s_mov_b32 s12, 0x88fffff
	v_add3_u32 v1, v0, v1, s12
	s_mov_b64 s[8:9], exec
	v_lshrrev_b32_e32 v1, 21, v1
	s_or_saveexec_b64 s[10:11], s[10:11]
                                        ; implicit-def: $sgpr12
	s_xor_b64 exec, exec, s[10:11]
	s_cbranch_execnz .LBB17_2162
.LBB17_1959:
	s_or_b64 exec, exec, s[10:11]
	v_mov_b32_e32 v4, s12
	s_and_saveexec_b64 s[10:11], s[8:9]
.LBB17_1960:
	v_lshrrev_b32_e32 v4, 24, v0
	s_movk_i32 s8, 0x80
	v_and_or_b32 v4, v4, s8, v1
.LBB17_1961:
	s_or_b64 exec, exec, s[10:11]
.LBB17_1962:
	s_or_b64 exec, exec, s[6:7]
	s_mov_b64 s[6:7], 0
	global_store_byte v[2:3], v4, off
.LBB17_1963:
	s_and_b64 vcc, exec, s[6:7]
	s_cbranch_vccz .LBB17_1973
; %bb.1964:
	v_and_b32_e32 v4, 0x7fffffff, v0
	s_mov_b32 s6, 0x43f00000
	v_cmp_gt_u32_e32 vcc, s6, v4
                                        ; implicit-def: $vgpr1
	s_and_saveexec_b64 s[6:7], vcc
	s_xor_b64 s[6:7], exec, s[6:7]
	s_cbranch_execz .LBB17_1970
; %bb.1965:
	s_mov_b32 s8, 0x3c7fffff
	v_cmp_lt_u32_e32 vcc, s8, v4
                                        ; implicit-def: $vgpr1
	s_and_saveexec_b64 s[8:9], vcc
	s_xor_b64 s[8:9], exec, s[8:9]
; %bb.1966:
	v_bfe_u32 v1, v0, 20, 1
	s_mov_b32 s10, 0x407ffff
	v_add3_u32 v1, v0, v1, s10
	v_lshrrev_b32_e32 v4, 20, v1
	v_and_b32_e32 v1, 0xff00000, v1
	s_mov_b32 s10, 0x7f00000
	v_mov_b32_e32 v5, 0x7e
	v_cmp_ne_u32_e32 vcc, s10, v1
	v_cndmask_b32_e32 v1, v5, v4, vcc
; %bb.1967:
	s_andn2_saveexec_b64 s[8:9], s[8:9]
; %bb.1968:
	s_mov_b32 s10, 0x46800000
	v_add_f32_e64 v1, |v0|, s10
; %bb.1969:
	s_or_b64 exec, exec, s[8:9]
                                        ; implicit-def: $vgpr4
.LBB17_1970:
	s_andn2_saveexec_b64 s[6:7], s[6:7]
; %bb.1971:
	s_mov_b32 s8, 0x7f800000
	v_mov_b32_e32 v1, 0x7e
	v_mov_b32_e32 v5, 0x7f
	v_cmp_lt_u32_e32 vcc, s8, v4
	v_cndmask_b32_e32 v1, v1, v5, vcc
; %bb.1972:
	s_or_b64 exec, exec, s[6:7]
	v_lshrrev_b32_e32 v4, 24, v0
	s_movk_i32 s6, 0x80
	v_and_or_b32 v1, v4, s6, v1
	global_store_byte v[2:3], v1, off
.LBB17_1973:
	s_mov_b64 s[6:7], 0
.LBB17_1974:
	s_andn2_b64 vcc, exec, s[6:7]
	s_cbranch_vccnz .LBB17_1984
; %bb.1975:
	v_and_b32_e32 v4, 0x7fffffff, v0
	s_mov_b32 s6, 0x47800000
	v_cmp_gt_u32_e32 vcc, s6, v4
                                        ; implicit-def: $vgpr1
	s_and_saveexec_b64 s[6:7], vcc
	s_xor_b64 s[6:7], exec, s[6:7]
	s_cbranch_execz .LBB17_1981
; %bb.1976:
	s_mov_b32 s8, 0x387fffff
	v_cmp_lt_u32_e32 vcc, s8, v4
                                        ; implicit-def: $vgpr1
	s_and_saveexec_b64 s[8:9], vcc
	s_xor_b64 s[8:9], exec, s[8:9]
; %bb.1977:
	v_bfe_u32 v1, v0, 21, 1
	s_mov_b32 s10, 0x80fffff
	v_add3_u32 v1, v0, v1, s10
	v_lshrrev_b32_e32 v1, 21, v1
; %bb.1978:
	s_andn2_saveexec_b64 s[8:9], s[8:9]
; %bb.1979:
	s_mov_b32 s10, 0x43000000
	v_add_f32_e64 v1, |v0|, s10
; %bb.1980:
	s_or_b64 exec, exec, s[8:9]
                                        ; implicit-def: $vgpr4
.LBB17_1981:
	s_andn2_saveexec_b64 s[6:7], s[6:7]
; %bb.1982:
	s_mov_b32 s8, 0x7f800000
	v_mov_b32_e32 v1, 0x7c
	v_mov_b32_e32 v5, 0x7f
	v_cmp_lt_u32_e32 vcc, s8, v4
	v_cndmask_b32_e32 v1, v1, v5, vcc
; %bb.1983:
	s_or_b64 exec, exec, s[6:7]
	v_lshrrev_b32_e32 v4, 24, v0
	s_movk_i32 s6, 0x80
	v_and_or_b32 v1, v4, s6, v1
	global_store_byte v[2:3], v1, off
.LBB17_1984:
	s_mov_b64 s[6:7], 0
	s_mov_b64 s[8:9], -1
.LBB17_1985:
	s_andn2_b64 vcc, exec, s[6:7]
	s_mov_b64 s[6:7], 0
	s_cbranch_vccnz .LBB17_1992
; %bb.1986:
	v_mov_b32_e32 v1, 14
	v_cmp_gt_i16_sdwa s[6:7], s38, v1 src0_sel:BYTE_0 src1_sel:DWORD
	s_mov_b64 s[10:11], -1
	s_and_b64 vcc, exec, s[6:7]
	s_cbranch_vccz .LBB17_1990
; %bb.1987:
	v_mov_b32_e32 v1, 15
	v_cmp_eq_u16_sdwa s[6:7], s38, v1 src0_sel:BYTE_0 src1_sel:DWORD
	s_mov_b64 s[4:5], -1
	s_and_b64 vcc, exec, s[6:7]
	s_cbranch_vccz .LBB17_1989
; %bb.1988:
	v_bfe_u32 v1, v0, 16, 1
	s_movk_i32 s4, 0x7fff
	v_add3_u32 v1, v0, v1, s4
	v_lshrrev_b32_e32 v1, 16, v1
	v_mov_b32_e32 v4, 0x7fc0
	v_cmp_o_f32_e32 vcc, v0, v0
	v_cndmask_b32_e32 v1, v4, v1, vcc
	global_store_short v[2:3], v1, off
	s_mov_b64 s[4:5], 0
	s_mov_b64 s[8:9], -1
.LBB17_1989:
	s_mov_b64 s[10:11], 0
.LBB17_1990:
	s_mov_b64 s[6:7], 0
	s_and_b64 vcc, exec, s[10:11]
	s_cbranch_vccz .LBB17_1992
; %bb.1991:
	v_mov_b32_e32 v1, 11
	v_cmp_ne_u16_sdwa s[4:5], s38, v1 src0_sel:BYTE_0 src1_sel:DWORD
	s_mov_b64 s[6:7], -1
.LBB17_1992:
	s_and_b64 vcc, exec, s[4:5]
	s_cbranch_vccnz .LBB17_2160
; %bb.1993:
	s_andn2_b64 vcc, exec, s[6:7]
	s_cbranch_vccnz .LBB17_1995
.LBB17_1994:
	v_cmp_neq_f32_e32 vcc, 0, v0
	v_cndmask_b32_e64 v1, 0, 1, vcc
	s_mov_b64 s[8:9], -1
	global_store_byte v[2:3], v1, off
.LBB17_1995:
	s_mov_b64 s[4:5], 0
.LBB17_1996:
	s_and_b64 vcc, exec, s[4:5]
	s_cbranch_vccz .LBB17_2035
; %bb.1997:
	v_mov_b32_e32 v1, 5
	v_cmp_lt_i16_sdwa s[6:7], s38, v1 src0_sel:BYTE_0 src1_sel:DWORD
	s_mov_b64 s[4:5], -1
	s_and_b64 vcc, exec, s[6:7]
	s_cbranch_vccnz .LBB17_2018
; %bb.1998:
	v_mov_b32_e32 v1, 8
	v_cmp_lt_i16_sdwa s[6:7], s38, v1 src0_sel:BYTE_0 src1_sel:DWORD
	s_and_b64 vcc, exec, s[6:7]
	s_cbranch_vccnz .LBB17_2008
; %bb.1999:
	v_mov_b32_e32 v1, 9
	v_cmp_lt_i16_sdwa s[6:7], s38, v1 src0_sel:BYTE_0 src1_sel:DWORD
	s_and_b64 vcc, exec, s[6:7]
	s_cbranch_vccnz .LBB17_2005
; %bb.2000:
	v_cmp_gt_i16_sdwa s[6:7], s38, v1 src0_sel:BYTE_0 src1_sel:DWORD
	s_and_b64 vcc, exec, s[6:7]
	s_cbranch_vccz .LBB17_2002
; %bb.2001:
	v_mov_b32_e32 v6, 0
	v_cvt_f64_f32_e32 v[4:5], v0
	v_mov_b32_e32 v7, v6
	global_store_dwordx4 v[2:3], v[4:7], off
	s_mov_b64 s[4:5], 0
.LBB17_2002:
	s_andn2_b64 vcc, exec, s[4:5]
	s_cbranch_vccnz .LBB17_2004
; %bb.2003:
	v_mov_b32_e32 v1, 0
	global_store_dwordx2 v[2:3], v[0:1], off
.LBB17_2004:
	s_mov_b64 s[4:5], 0
.LBB17_2005:
	s_andn2_b64 vcc, exec, s[4:5]
	s_cbranch_vccnz .LBB17_2007
; %bb.2006:
	v_cvt_f16_f32_e32 v1, v0
	global_store_dword v[2:3], v1, off
.LBB17_2007:
	s_mov_b64 s[4:5], 0
.LBB17_2008:
	s_andn2_b64 vcc, exec, s[4:5]
	s_cbranch_vccnz .LBB17_2017
; %bb.2009:
	v_mov_b32_e32 v1, 6
	v_cmp_lt_i16_sdwa s[6:7], s38, v1 src0_sel:BYTE_0 src1_sel:DWORD
	s_mov_b64 s[4:5], -1
	s_and_b64 vcc, exec, s[6:7]
	s_cbranch_vccnz .LBB17_2015
; %bb.2010:
	v_cmp_gt_i16_sdwa s[6:7], s38, v1 src0_sel:BYTE_0 src1_sel:DWORD
	s_and_b64 vcc, exec, s[6:7]
	s_cbranch_vccz .LBB17_2012
; %bb.2011:
	v_cvt_f64_f32_e32 v[4:5], v0
	global_store_dwordx2 v[2:3], v[4:5], off
	s_mov_b64 s[4:5], 0
.LBB17_2012:
	s_andn2_b64 vcc, exec, s[4:5]
	s_cbranch_vccnz .LBB17_2014
; %bb.2013:
	global_store_dword v[2:3], v0, off
.LBB17_2014:
	s_mov_b64 s[4:5], 0
.LBB17_2015:
	s_andn2_b64 vcc, exec, s[4:5]
	s_cbranch_vccnz .LBB17_2017
; %bb.2016:
	v_cvt_f16_f32_e32 v1, v0
	global_store_short v[2:3], v1, off
.LBB17_2017:
	s_mov_b64 s[4:5], 0
.LBB17_2018:
	s_andn2_b64 vcc, exec, s[4:5]
	s_cbranch_vccnz .LBB17_2034
; %bb.2019:
	v_mov_b32_e32 v1, 2
	v_cmp_lt_i16_sdwa s[6:7], s38, v1 src0_sel:BYTE_0 src1_sel:DWORD
	s_mov_b64 s[4:5], -1
	s_and_b64 vcc, exec, s[6:7]
	s_cbranch_vccnz .LBB17_2029
; %bb.2020:
	v_mov_b32_e32 v1, 3
	v_cmp_lt_i16_sdwa s[6:7], s38, v1 src0_sel:BYTE_0 src1_sel:DWORD
	s_and_b64 vcc, exec, s[6:7]
	s_cbranch_vccnz .LBB17_2026
; %bb.2021:
	v_cmp_gt_i16_sdwa s[6:7], s38, v1 src0_sel:BYTE_0 src1_sel:DWORD
	s_and_b64 vcc, exec, s[6:7]
	s_cbranch_vccz .LBB17_2023
; %bb.2022:
	v_trunc_f32_e32 v1, v0
	s_mov_b32 s4, 0x2f800000
	v_mul_f32_e64 v4, |v1|, s4
	v_floor_f32_e32 v4, v4
	s_mov_b32 s4, 0xcf800000
	v_cvt_u32_f32_e32 v5, v4
	v_fma_f32 v4, v4, s4, |v1|
	v_cvt_u32_f32_e32 v4, v4
	v_ashrrev_i32_e32 v1, 31, v1
	v_xor_b32_e32 v5, v5, v1
	s_mov_b64 s[4:5], 0
	v_xor_b32_e32 v4, v4, v1
	v_sub_co_u32_e32 v4, vcc, v4, v1
	v_subb_co_u32_e32 v5, vcc, v5, v1, vcc
	global_store_dwordx2 v[2:3], v[4:5], off
.LBB17_2023:
	s_andn2_b64 vcc, exec, s[4:5]
	s_cbranch_vccnz .LBB17_2025
; %bb.2024:
	v_cvt_i32_f32_e32 v1, v0
	global_store_dword v[2:3], v1, off
.LBB17_2025:
	s_mov_b64 s[4:5], 0
.LBB17_2026:
	s_andn2_b64 vcc, exec, s[4:5]
	s_cbranch_vccnz .LBB17_2028
; %bb.2027:
	v_cvt_i32_f32_e32 v1, v0
	global_store_short v[2:3], v1, off
.LBB17_2028:
	s_mov_b64 s[4:5], 0
.LBB17_2029:
	s_andn2_b64 vcc, exec, s[4:5]
	s_cbranch_vccnz .LBB17_2034
; %bb.2030:
	v_mov_b32_e32 v1, 0
	v_cmp_gt_i16_sdwa s[6:7], s38, v1 src0_sel:BYTE_0 src1_sel:DWORD
	s_mov_b64 s[4:5], -1
	s_and_b64 vcc, exec, s[6:7]
	s_cbranch_vccz .LBB17_2032
; %bb.2031:
	v_cvt_i32_f32_e32 v1, v0
	s_mov_b64 s[4:5], 0
	global_store_byte v[2:3], v1, off
.LBB17_2032:
	s_andn2_b64 vcc, exec, s[4:5]
	s_cbranch_vccnz .LBB17_2034
; %bb.2033:
	v_trunc_f32_e32 v0, v0
	s_mov_b32 s4, 0x2f800000
	v_mul_f32_e64 v1, |v0|, s4
	v_floor_f32_e32 v1, v1
	s_mov_b32 s4, 0xcf800000
	v_fma_f32 v1, v1, s4, |v0|
	v_cvt_u32_f32_e32 v1, v1
	v_ashrrev_i32_e32 v0, 31, v0
	v_xor_b32_e32 v1, v1, v0
	v_sub_u32_e32 v0, v1, v0
	global_store_byte v[2:3], v0, off
.LBB17_2034:
	s_mov_b64 s[8:9], -1
.LBB17_2035:
	s_andn2_b64 vcc, exec, s[8:9]
	s_cbranch_vccnz .LBB17_2112
; %bb.2036:
	v_mov_b32_e32 v0, v43
	s_getpc_b64 s[4:5]
	s_add_u32 s4, s4, _Z17bessel_j1_forwardIfET_S0_@rel32@lo+4
	s_addc_u32 s5, s5, _Z17bessel_j1_forwardIfET_S0_@rel32@hi+12
	s_swappc_b64 s[30:31], s[4:5]
	v_mov_b32_e32 v1, 0xff
	v_and_b32_e32 v4, s38, v1
	v_mov_b32_e32 v1, s41
	v_add_co_u32_e32 v2, vcc, s40, v44
	v_addc_co_u32_e32 v3, vcc, 0, v1, vcc
	v_cmp_gt_i16_e32 vcc, 11, v4
	s_cbranch_vccnz .LBB17_2157
; %bb.2037:
	v_cmp_lt_i16_e32 vcc, 25, v4
	s_mov_b64 s[8:9], -1
	s_mov_b64 s[6:7], 0
	s_mov_b64 s[4:5], 0
	s_cbranch_vccz .LBB17_2070
; %bb.2038:
	v_cmp_lt_i16_e32 vcc, 28, v4
	s_cbranch_vccz .LBB17_2054
; %bb.2039:
	v_cmp_lt_i16_e32 vcc, 43, v4
	;; [unrolled: 3-line block ×3, first 2 shown]
	s_cbranch_vccz .LBB17_2044
; %bb.2041:
	v_cmp_eq_u16_e32 vcc, 46, v4
	s_mov_b64 s[4:5], -1
	s_cbranch_vccz .LBB17_2043
; %bb.2042:
	v_bfe_u32 v1, v0, 16, 1
	s_movk_i32 s4, 0x7fff
	v_add3_u32 v1, v0, v1, s4
	v_lshrrev_b32_e32 v1, 16, v1
	v_mov_b32_e32 v5, 0x7fc0
	v_cmp_o_f32_e32 vcc, v0, v0
	v_cndmask_b32_e32 v1, v5, v1, vcc
	global_store_dword v[2:3], v1, off
	s_mov_b64 s[4:5], 0
.LBB17_2043:
	s_mov_b64 s[8:9], 0
.LBB17_2044:
	s_and_b64 vcc, exec, s[8:9]
	s_cbranch_vccz .LBB17_2049
; %bb.2045:
	v_cmp_eq_u16_e32 vcc, 44, v4
	s_mov_b64 s[4:5], -1
	s_cbranch_vccz .LBB17_2049
; %bb.2046:
	v_bfe_u32 v1, v0, 23, 8
	s_movk_i32 s4, 0xff
	v_cmp_ne_u32_e32 vcc, s4, v1
	v_mov_b32_e32 v5, 0xff
	s_and_saveexec_b64 s[8:9], vcc
; %bb.2047:
	s_mov_b32 s4, 0x3fffff
	v_and_b32_e32 v6, 0x400000, v0
	v_and_or_b32 v1, v0, s4, v1
	v_cmp_ne_u32_e32 vcc, 0, v6
	v_cmp_ne_u32_e64 s[4:5], 0, v1
	s_and_b64 s[4:5], vcc, s[4:5]
	v_lshrrev_b32_e32 v5, 23, v0
	v_cndmask_b32_e64 v1, 0, 1, s[4:5]
	v_add_u32_e32 v5, v5, v1
; %bb.2048:
	s_or_b64 exec, exec, s[8:9]
	s_mov_b64 s[4:5], 0
	global_store_byte v[2:3], v5, off
.LBB17_2049:
	s_mov_b64 s[8:9], 0
.LBB17_2050:
	s_and_b64 vcc, exec, s[8:9]
	s_cbranch_vccz .LBB17_2053
; %bb.2051:
	v_cmp_eq_u16_e32 vcc, 29, v4
	s_mov_b64 s[4:5], -1
	s_cbranch_vccz .LBB17_2053
; %bb.2052:
	v_trunc_f32_e32 v1, v0
	v_mul_f32_e32 v5, 0x2f800000, v1
	v_floor_f32_e32 v5, v5
	v_fmac_f32_e32 v1, 0xcf800000, v5
	v_cvt_u32_f32_e32 v7, v5
	v_cvt_u32_f32_e32 v6, v1
	s_mov_b64 s[4:5], 0
	global_store_dwordx2 v[2:3], v[6:7], off
.LBB17_2053:
	s_mov_b64 s[8:9], 0
.LBB17_2054:
	s_and_b64 vcc, exec, s[8:9]
	s_cbranch_vccz .LBB17_2069
; %bb.2055:
	v_cmp_gt_i16_e32 vcc, 27, v4
	s_mov_b64 s[8:9], -1
	s_cbranch_vccnz .LBB17_2061
; %bb.2056:
	v_cmp_lt_i16_e32 vcc, 27, v4
	s_cbranch_vccz .LBB17_2058
; %bb.2057:
	v_cvt_u32_f32_e32 v1, v0
	s_mov_b64 s[8:9], 0
	global_store_dword v[2:3], v1, off
.LBB17_2058:
	s_andn2_b64 vcc, exec, s[8:9]
	s_cbranch_vccnz .LBB17_2060
; %bb.2059:
	v_cvt_u32_f32_e32 v1, v0
	global_store_short v[2:3], v1, off
.LBB17_2060:
	s_mov_b64 s[8:9], 0
.LBB17_2061:
	s_andn2_b64 vcc, exec, s[8:9]
	s_cbranch_vccnz .LBB17_2069
; %bb.2062:
	v_and_b32_e32 v1, 0x7fffffff, v0
	s_mov_b32 s8, 0x43800000
	v_cmp_gt_u32_e32 vcc, s8, v1
	v_mov_b32_e32 v5, 0x80
	s_and_saveexec_b64 s[8:9], vcc
	s_cbranch_execz .LBB17_2068
; %bb.2063:
	s_mov_b32 s10, 0x3bffffff
	v_cmp_lt_u32_e32 vcc, s10, v1
	s_mov_b64 s[10:11], 0
                                        ; implicit-def: $vgpr1
	s_and_saveexec_b64 s[12:13], vcc
	s_xor_b64 s[12:13], exec, s[12:13]
	s_cbranch_execz .LBB17_2163
; %bb.2064:
	v_bfe_u32 v1, v0, 20, 1
	s_mov_b32 s14, 0x487ffff
	v_add3_u32 v1, v0, v1, s14
	s_mov_b64 s[10:11], exec
	v_lshrrev_b32_e32 v1, 20, v1
	s_or_saveexec_b64 s[12:13], s[12:13]
                                        ; implicit-def: $sgpr14
	s_xor_b64 exec, exec, s[12:13]
	s_cbranch_execnz .LBB17_2164
.LBB17_2065:
	s_or_b64 exec, exec, s[12:13]
	v_mov_b32_e32 v5, s14
	s_and_saveexec_b64 s[12:13], s[10:11]
.LBB17_2066:
	v_lshrrev_b32_e32 v5, 24, v0
	s_movk_i32 s10, 0x80
	v_and_or_b32 v5, v5, s10, v1
.LBB17_2067:
	s_or_b64 exec, exec, s[12:13]
.LBB17_2068:
	s_or_b64 exec, exec, s[8:9]
	global_store_byte v[2:3], v5, off
.LBB17_2069:
	s_mov_b64 s[8:9], 0
.LBB17_2070:
	s_and_b64 vcc, exec, s[8:9]
	s_cbranch_vccz .LBB17_2110
; %bb.2071:
	v_cmp_lt_i16_e32 vcc, 22, v4
	s_mov_b64 s[6:7], -1
	s_cbranch_vccz .LBB17_2103
; %bb.2072:
	v_cmp_gt_i16_e32 vcc, 24, v4
	s_cbranch_vccnz .LBB17_2092
; %bb.2073:
	v_cmp_lt_i16_e32 vcc, 24, v4
	s_cbranch_vccz .LBB17_2081
; %bb.2074:
	v_and_b32_e32 v1, 0x7fffffff, v0
	s_mov_b32 s6, 0x47800000
	v_cmp_gt_u32_e32 vcc, s6, v1
	v_mov_b32_e32 v5, 0x80
	s_and_saveexec_b64 s[6:7], vcc
	s_cbranch_execz .LBB17_2080
; %bb.2075:
	s_mov_b32 s8, 0x37ffffff
	v_cmp_lt_u32_e32 vcc, s8, v1
	s_mov_b64 s[8:9], 0
                                        ; implicit-def: $vgpr1
	s_and_saveexec_b64 s[10:11], vcc
	s_xor_b64 s[10:11], exec, s[10:11]
	s_cbranch_execz .LBB17_2166
; %bb.2076:
	v_bfe_u32 v1, v0, 21, 1
	s_mov_b32 s12, 0x88fffff
	v_add3_u32 v1, v0, v1, s12
	s_mov_b64 s[8:9], exec
	v_lshrrev_b32_e32 v1, 21, v1
	s_or_saveexec_b64 s[10:11], s[10:11]
                                        ; implicit-def: $sgpr12
	s_xor_b64 exec, exec, s[10:11]
	s_cbranch_execnz .LBB17_2167
.LBB17_2077:
	s_or_b64 exec, exec, s[10:11]
	v_mov_b32_e32 v5, s12
	s_and_saveexec_b64 s[10:11], s[8:9]
.LBB17_2078:
	v_lshrrev_b32_e32 v5, 24, v0
	s_movk_i32 s8, 0x80
	v_and_or_b32 v5, v5, s8, v1
.LBB17_2079:
	s_or_b64 exec, exec, s[10:11]
.LBB17_2080:
	s_or_b64 exec, exec, s[6:7]
	s_mov_b64 s[6:7], 0
	global_store_byte v[2:3], v5, off
.LBB17_2081:
	s_and_b64 vcc, exec, s[6:7]
	s_cbranch_vccz .LBB17_2091
; %bb.2082:
	v_and_b32_e32 v5, 0x7fffffff, v0
	s_mov_b32 s6, 0x43f00000
	v_cmp_gt_u32_e32 vcc, s6, v5
                                        ; implicit-def: $vgpr1
	s_and_saveexec_b64 s[6:7], vcc
	s_xor_b64 s[6:7], exec, s[6:7]
	s_cbranch_execz .LBB17_2088
; %bb.2083:
	s_mov_b32 s8, 0x3c7fffff
	v_cmp_lt_u32_e32 vcc, s8, v5
                                        ; implicit-def: $vgpr1
	s_and_saveexec_b64 s[8:9], vcc
	s_xor_b64 s[8:9], exec, s[8:9]
; %bb.2084:
	v_bfe_u32 v1, v0, 20, 1
	s_mov_b32 s10, 0x407ffff
	v_add3_u32 v1, v0, v1, s10
	v_lshrrev_b32_e32 v5, 20, v1
	v_and_b32_e32 v1, 0xff00000, v1
	s_mov_b32 s10, 0x7f00000
	v_mov_b32_e32 v6, 0x7e
	v_cmp_ne_u32_e32 vcc, s10, v1
	v_cndmask_b32_e32 v1, v6, v5, vcc
; %bb.2085:
	s_andn2_saveexec_b64 s[8:9], s[8:9]
; %bb.2086:
	s_mov_b32 s10, 0x46800000
	v_add_f32_e64 v1, |v0|, s10
; %bb.2087:
	s_or_b64 exec, exec, s[8:9]
                                        ; implicit-def: $vgpr5
.LBB17_2088:
	s_andn2_saveexec_b64 s[6:7], s[6:7]
; %bb.2089:
	s_mov_b32 s8, 0x7f800000
	v_mov_b32_e32 v1, 0x7e
	v_mov_b32_e32 v6, 0x7f
	v_cmp_lt_u32_e32 vcc, s8, v5
	v_cndmask_b32_e32 v1, v1, v6, vcc
; %bb.2090:
	s_or_b64 exec, exec, s[6:7]
	v_lshrrev_b32_e32 v5, 24, v0
	s_movk_i32 s6, 0x80
	v_and_or_b32 v1, v5, s6, v1
	global_store_byte v[2:3], v1, off
.LBB17_2091:
	s_mov_b64 s[6:7], 0
.LBB17_2092:
	s_andn2_b64 vcc, exec, s[6:7]
	s_cbranch_vccnz .LBB17_2102
; %bb.2093:
	v_and_b32_e32 v5, 0x7fffffff, v0
	s_mov_b32 s6, 0x47800000
	v_cmp_gt_u32_e32 vcc, s6, v5
                                        ; implicit-def: $vgpr1
	s_and_saveexec_b64 s[6:7], vcc
	s_xor_b64 s[6:7], exec, s[6:7]
	s_cbranch_execz .LBB17_2099
; %bb.2094:
	s_mov_b32 s8, 0x387fffff
	v_cmp_lt_u32_e32 vcc, s8, v5
                                        ; implicit-def: $vgpr1
	s_and_saveexec_b64 s[8:9], vcc
	s_xor_b64 s[8:9], exec, s[8:9]
; %bb.2095:
	v_bfe_u32 v1, v0, 21, 1
	s_mov_b32 s10, 0x80fffff
	v_add3_u32 v1, v0, v1, s10
	v_lshrrev_b32_e32 v1, 21, v1
; %bb.2096:
	s_andn2_saveexec_b64 s[8:9], s[8:9]
; %bb.2097:
	s_mov_b32 s10, 0x43000000
	v_add_f32_e64 v1, |v0|, s10
; %bb.2098:
	s_or_b64 exec, exec, s[8:9]
                                        ; implicit-def: $vgpr5
.LBB17_2099:
	s_andn2_saveexec_b64 s[6:7], s[6:7]
; %bb.2100:
	s_mov_b32 s8, 0x7f800000
	v_mov_b32_e32 v1, 0x7c
	v_mov_b32_e32 v6, 0x7f
	v_cmp_lt_u32_e32 vcc, s8, v5
	v_cndmask_b32_e32 v1, v1, v6, vcc
; %bb.2101:
	s_or_b64 exec, exec, s[6:7]
	v_lshrrev_b32_e32 v5, 24, v0
	s_movk_i32 s6, 0x80
	v_and_or_b32 v1, v5, s6, v1
	global_store_byte v[2:3], v1, off
.LBB17_2102:
	s_mov_b64 s[6:7], 0
.LBB17_2103:
	s_andn2_b64 vcc, exec, s[6:7]
	s_mov_b64 s[6:7], 0
	s_cbranch_vccnz .LBB17_2110
; %bb.2104:
	v_cmp_lt_i16_e32 vcc, 14, v4
	s_mov_b64 s[8:9], -1
	s_cbranch_vccz .LBB17_2108
; %bb.2105:
	v_cmp_eq_u16_e32 vcc, 15, v4
	s_mov_b64 s[4:5], -1
	s_cbranch_vccz .LBB17_2107
; %bb.2106:
	v_bfe_u32 v1, v0, 16, 1
	s_movk_i32 s4, 0x7fff
	v_add3_u32 v1, v0, v1, s4
	v_lshrrev_b32_e32 v1, 16, v1
	v_mov_b32_e32 v5, 0x7fc0
	v_cmp_o_f32_e32 vcc, v0, v0
	v_cndmask_b32_e32 v1, v5, v1, vcc
	global_store_short v[2:3], v1, off
	s_mov_b64 s[4:5], 0
.LBB17_2107:
	s_mov_b64 s[8:9], 0
.LBB17_2108:
	s_and_b64 vcc, exec, s[8:9]
	s_cbranch_vccz .LBB17_2110
; %bb.2109:
	v_cmp_ne_u16_e64 s[4:5], 11, v4
	s_mov_b64 s[6:7], -1
.LBB17_2110:
	s_and_b64 vcc, exec, s[4:5]
	s_cbranch_vccnz .LBB17_2165
.LBB17_2111:
	s_mov_b64 s[4:5], 0
	s_branch .LBB17_2113
.LBB17_2112:
	s_mov_b64 s[4:5], 0
	s_mov_b64 s[6:7], 0
                                        ; implicit-def: $vgpr2_vgpr3
                                        ; implicit-def: $vgpr4
                                        ; implicit-def: $vgpr0
.LBB17_2113:
	s_and_b64 s[52:53], s[6:7], exec
	s_andn2_b64 s[6:7], s[44:45], exec
	s_and_b64 s[8:9], s[36:37], exec
	s_and_b64 s[4:5], s[4:5], exec
	s_or_b64 s[44:45], s[6:7], s[8:9]
.LBB17_2114:
	s_or_b64 exec, exec, s[46:47]
	s_and_saveexec_b64 s[6:7], s[44:45]
	s_cbranch_execz .LBB17_2117
; %bb.2115:
	; divergent unreachable
	s_or_b64 exec, exec, s[6:7]
	s_and_saveexec_b64 s[6:7], s[52:53]
	s_xor_b64 s[6:7], exec, s[6:7]
	s_cbranch_execnz .LBB17_2118
.LBB17_2116:
	s_or_b64 exec, exec, s[6:7]
	s_and_saveexec_b64 s[6:7], s[4:5]
	s_cbranch_execnz .LBB17_2119
	s_branch .LBB17_2156
.LBB17_2117:
	s_or_b64 exec, exec, s[6:7]
	s_and_saveexec_b64 s[6:7], s[52:53]
	s_xor_b64 s[6:7], exec, s[6:7]
	s_cbranch_execz .LBB17_2116
.LBB17_2118:
	s_waitcnt vmcnt(0)
	v_cmp_neq_f32_e32 vcc, 0, v0
	v_cndmask_b32_e64 v1, 0, 1, vcc
	global_store_byte v[2:3], v1, off
	s_or_b64 exec, exec, s[6:7]
	s_and_saveexec_b64 s[6:7], s[4:5]
	s_cbranch_execz .LBB17_2156
.LBB17_2119:
	v_cmp_gt_i16_e32 vcc, 5, v4
	s_mov_b64 s[4:5], -1
	s_cbranch_vccnz .LBB17_2140
; %bb.2120:
	v_cmp_gt_i16_e32 vcc, 8, v4
	s_cbranch_vccnz .LBB17_2130
; %bb.2121:
	v_cmp_gt_i16_e32 vcc, 9, v4
	s_cbranch_vccnz .LBB17_2127
; %bb.2122:
	v_cmp_lt_i16_e32 vcc, 9, v4
	s_cbranch_vccz .LBB17_2124
; %bb.2123:
	v_mov_b32_e32 v8, 0
	s_waitcnt vmcnt(0)
	v_cvt_f64_f32_e32 v[6:7], v0
	v_mov_b32_e32 v9, v8
	global_store_dwordx4 v[2:3], v[6:9], off
	s_mov_b64 s[4:5], 0
.LBB17_2124:
	s_andn2_b64 vcc, exec, s[4:5]
	s_cbranch_vccnz .LBB17_2126
; %bb.2125:
	s_waitcnt vmcnt(0)
	v_mov_b32_e32 v1, 0
	global_store_dwordx2 v[2:3], v[0:1], off
.LBB17_2126:
	s_mov_b64 s[4:5], 0
.LBB17_2127:
	s_andn2_b64 vcc, exec, s[4:5]
	s_cbranch_vccnz .LBB17_2129
; %bb.2128:
	s_waitcnt vmcnt(0)
	v_cvt_f16_f32_e32 v1, v0
	global_store_dword v[2:3], v1, off
.LBB17_2129:
	s_mov_b64 s[4:5], 0
.LBB17_2130:
	s_andn2_b64 vcc, exec, s[4:5]
	s_cbranch_vccnz .LBB17_2139
; %bb.2131:
	v_cmp_gt_i16_e32 vcc, 6, v4
	s_mov_b64 s[4:5], -1
	s_cbranch_vccnz .LBB17_2137
; %bb.2132:
	v_cmp_lt_i16_e32 vcc, 6, v4
	s_cbranch_vccz .LBB17_2134
; %bb.2133:
	s_waitcnt vmcnt(0)
	v_cvt_f64_f32_e32 v[6:7], v0
	global_store_dwordx2 v[2:3], v[6:7], off
	s_mov_b64 s[4:5], 0
.LBB17_2134:
	s_andn2_b64 vcc, exec, s[4:5]
	s_cbranch_vccnz .LBB17_2136
; %bb.2135:
	s_waitcnt vmcnt(0)
	global_store_dword v[2:3], v0, off
.LBB17_2136:
	s_mov_b64 s[4:5], 0
.LBB17_2137:
	s_andn2_b64 vcc, exec, s[4:5]
	s_cbranch_vccnz .LBB17_2139
; %bb.2138:
	s_waitcnt vmcnt(0)
	v_cvt_f16_f32_e32 v1, v0
	global_store_short v[2:3], v1, off
.LBB17_2139:
	s_mov_b64 s[4:5], 0
.LBB17_2140:
	s_andn2_b64 vcc, exec, s[4:5]
	s_cbranch_vccnz .LBB17_2156
; %bb.2141:
	v_cmp_gt_i16_e32 vcc, 2, v4
	s_mov_b64 s[4:5], -1
	s_cbranch_vccnz .LBB17_2151
; %bb.2142:
	v_cmp_gt_i16_e32 vcc, 3, v4
	s_cbranch_vccnz .LBB17_2148
; %bb.2143:
	v_cmp_lt_i16_e32 vcc, 3, v4
	s_cbranch_vccz .LBB17_2145
; %bb.2144:
	s_waitcnt vmcnt(0)
	v_trunc_f32_e32 v1, v0
	s_mov_b32 s4, 0x2f800000
	v_mul_f32_e64 v5, |v1|, s4
	v_floor_f32_e32 v5, v5
	s_mov_b32 s4, 0xcf800000
	v_cvt_u32_f32_e32 v6, v5
	v_fma_f32 v5, v5, s4, |v1|
	v_cvt_u32_f32_e32 v5, v5
	v_ashrrev_i32_e32 v1, 31, v1
	v_xor_b32_e32 v7, v6, v1
	s_mov_b64 s[4:5], 0
	v_xor_b32_e32 v5, v5, v1
	v_sub_co_u32_e32 v6, vcc, v5, v1
	v_subb_co_u32_e32 v7, vcc, v7, v1, vcc
	global_store_dwordx2 v[2:3], v[6:7], off
.LBB17_2145:
	s_andn2_b64 vcc, exec, s[4:5]
	s_cbranch_vccnz .LBB17_2147
; %bb.2146:
	s_waitcnt vmcnt(0)
	v_cvt_i32_f32_e32 v1, v0
	global_store_dword v[2:3], v1, off
.LBB17_2147:
	s_mov_b64 s[4:5], 0
.LBB17_2148:
	s_andn2_b64 vcc, exec, s[4:5]
	s_cbranch_vccnz .LBB17_2150
; %bb.2149:
	s_waitcnt vmcnt(0)
	v_cvt_i32_f32_e32 v1, v0
	global_store_short v[2:3], v1, off
.LBB17_2150:
	s_mov_b64 s[4:5], 0
.LBB17_2151:
	s_andn2_b64 vcc, exec, s[4:5]
	s_cbranch_vccnz .LBB17_2156
; %bb.2152:
	v_cmp_lt_i16_e32 vcc, 0, v4
	s_mov_b64 s[4:5], -1
	s_cbranch_vccz .LBB17_2154
; %bb.2153:
	s_waitcnt vmcnt(0)
	v_cvt_i32_f32_e32 v1, v0
	s_mov_b64 s[4:5], 0
	global_store_byte v[2:3], v1, off
.LBB17_2154:
	s_andn2_b64 vcc, exec, s[4:5]
	s_cbranch_vccnz .LBB17_2156
; %bb.2155:
	s_waitcnt vmcnt(0)
	v_trunc_f32_e32 v0, v0
	s_mov_b32 s4, 0x2f800000
	v_mul_f32_e64 v1, |v0|, s4
	v_floor_f32_e32 v1, v1
	s_mov_b32 s4, 0xcf800000
	v_fma_f32 v1, v1, s4, |v0|
	v_cvt_u32_f32_e32 v1, v1
	v_ashrrev_i32_e32 v0, 31, v0
	v_xor_b32_e32 v1, v1, v0
	v_sub_u32_e32 v0, v1, v0
	global_store_byte v[2:3], v0, off
	s_endpgm
.LBB17_2156:
	s_endpgm
.LBB17_2157:
	s_mov_b64 s[6:7], 0
	s_mov_b64 s[4:5], -1
	s_branch .LBB17_2113
.LBB17_2158:
	s_or_saveexec_b64 s[12:13], s[12:13]
                                        ; implicit-def: $sgpr14
	s_xor_b64 exec, exec, s[12:13]
	s_cbranch_execz .LBB17_1946
.LBB17_2159:
	s_mov_b32 s14, 0x46000000
	v_add_f32_e64 v1, |v0|, s14
	v_and_b32_e32 v1, 0xff, v1
	v_cmp_ne_u32_e32 vcc, 0, v1
	s_andn2_b64 s[10:11], s[10:11], exec
	s_and_b64 s[16:17], vcc, exec
	s_mov_b32 s14, 0
	s_or_b64 s[10:11], s[10:11], s[16:17]
	s_or_b64 exec, exec, s[12:13]
	v_mov_b32_e32 v4, s14
	s_and_saveexec_b64 s[12:13], s[10:11]
	s_cbranch_execnz .LBB17_1947
	s_branch .LBB17_1948
.LBB17_2160:
	s_trap 2
	s_or_b64 s[36:37], s[36:37], exec
	s_cbranch_execz .LBB17_1994
	s_branch .LBB17_1995
.LBB17_2161:
	s_or_saveexec_b64 s[10:11], s[10:11]
                                        ; implicit-def: $sgpr12
	s_xor_b64 exec, exec, s[10:11]
	s_cbranch_execz .LBB17_1959
.LBB17_2162:
	s_mov_b32 s12, 0x42800000
	v_add_f32_e64 v1, |v0|, s12
	v_and_b32_e32 v1, 0xff, v1
	v_cmp_ne_u32_e32 vcc, 0, v1
	s_andn2_b64 s[8:9], s[8:9], exec
	s_and_b64 s[14:15], vcc, exec
	s_mov_b32 s12, 0
	s_or_b64 s[8:9], s[8:9], s[14:15]
	s_or_b64 exec, exec, s[10:11]
	v_mov_b32_e32 v4, s12
	s_and_saveexec_b64 s[10:11], s[8:9]
	s_cbranch_execnz .LBB17_1960
	s_branch .LBB17_1961
.LBB17_2163:
	s_or_saveexec_b64 s[12:13], s[12:13]
                                        ; implicit-def: $sgpr14
	s_xor_b64 exec, exec, s[12:13]
	s_cbranch_execz .LBB17_2065
.LBB17_2164:
	s_mov_b32 s14, 0x46000000
	v_add_f32_e64 v1, |v0|, s14
	v_and_b32_e32 v1, 0xff, v1
	v_cmp_ne_u32_e32 vcc, 0, v1
	s_andn2_b64 s[10:11], s[10:11], exec
	s_and_b64 s[16:17], vcc, exec
	s_mov_b32 s14, 0
	s_or_b64 s[10:11], s[10:11], s[16:17]
	s_or_b64 exec, exec, s[12:13]
	v_mov_b32_e32 v5, s14
	s_and_saveexec_b64 s[12:13], s[10:11]
	s_cbranch_execnz .LBB17_2066
	s_branch .LBB17_2067
.LBB17_2165:
	s_mov_b64 s[6:7], 0
	s_or_b64 s[36:37], s[36:37], exec
	s_trap 2
	s_branch .LBB17_2111
.LBB17_2166:
	s_or_saveexec_b64 s[10:11], s[10:11]
                                        ; implicit-def: $sgpr12
	s_xor_b64 exec, exec, s[10:11]
	s_cbranch_execz .LBB17_2077
.LBB17_2167:
	s_mov_b32 s12, 0x42800000
	v_add_f32_e64 v1, |v0|, s12
	v_and_b32_e32 v1, 0xff, v1
	v_cmp_ne_u32_e32 vcc, 0, v1
	s_andn2_b64 s[8:9], s[8:9], exec
	s_and_b64 s[14:15], vcc, exec
	s_mov_b32 s12, 0
	s_or_b64 s[8:9], s[8:9], s[14:15]
	s_or_b64 exec, exec, s[10:11]
	v_mov_b32_e32 v5, s12
	s_and_saveexec_b64 s[10:11], s[8:9]
	s_cbranch_execnz .LBB17_2078
	s_branch .LBB17_2079
	.section	.rodata,"a",@progbits
	.p2align	6, 0x0
	.amdhsa_kernel _ZN2at6native32elementwise_kernel_manual_unrollILi128ELi4EZNS0_15gpu_kernel_implIZZZNS0_12_GLOBAL__N_121bessel_j1_kernel_cudaERNS_18TensorIteratorBaseEENKUlvE_clEvENKUlvE0_clEvEUlfE_EEvS5_RKT_EUlibE0_EEviT1_
		.amdhsa_group_segment_fixed_size 0
		.amdhsa_private_segment_fixed_size 16
		.amdhsa_kernarg_size 360
		.amdhsa_user_sgpr_count 8
		.amdhsa_user_sgpr_private_segment_buffer 1
		.amdhsa_user_sgpr_dispatch_ptr 0
		.amdhsa_user_sgpr_queue_ptr 0
		.amdhsa_user_sgpr_kernarg_segment_ptr 1
		.amdhsa_user_sgpr_dispatch_id 0
		.amdhsa_user_sgpr_flat_scratch_init 1
		.amdhsa_user_sgpr_kernarg_preload_length 0
		.amdhsa_user_sgpr_kernarg_preload_offset 0
		.amdhsa_user_sgpr_private_segment_size 0
		.amdhsa_uses_dynamic_stack 1
		.amdhsa_system_sgpr_private_segment_wavefront_offset 1
		.amdhsa_system_sgpr_workgroup_id_x 1
		.amdhsa_system_sgpr_workgroup_id_y 0
		.amdhsa_system_sgpr_workgroup_id_z 0
		.amdhsa_system_sgpr_workgroup_info 0
		.amdhsa_system_vgpr_workitem_id 0
		.amdhsa_next_free_vgpr 60
		.amdhsa_next_free_sgpr 86
		.amdhsa_accum_offset 60
		.amdhsa_reserve_vcc 1
		.amdhsa_reserve_flat_scratch 1
		.amdhsa_float_round_mode_32 0
		.amdhsa_float_round_mode_16_64 0
		.amdhsa_float_denorm_mode_32 3
		.amdhsa_float_denorm_mode_16_64 3
		.amdhsa_dx10_clamp 1
		.amdhsa_ieee_mode 1
		.amdhsa_fp16_overflow 0
		.amdhsa_tg_split 0
		.amdhsa_exception_fp_ieee_invalid_op 0
		.amdhsa_exception_fp_denorm_src 0
		.amdhsa_exception_fp_ieee_div_zero 0
		.amdhsa_exception_fp_ieee_overflow 0
		.amdhsa_exception_fp_ieee_underflow 0
		.amdhsa_exception_fp_ieee_inexact 0
		.amdhsa_exception_int_div_zero 0
	.end_amdhsa_kernel
	.section	.text._ZN2at6native32elementwise_kernel_manual_unrollILi128ELi4EZNS0_15gpu_kernel_implIZZZNS0_12_GLOBAL__N_121bessel_j1_kernel_cudaERNS_18TensorIteratorBaseEENKUlvE_clEvENKUlvE0_clEvEUlfE_EEvS5_RKT_EUlibE0_EEviT1_,"axG",@progbits,_ZN2at6native32elementwise_kernel_manual_unrollILi128ELi4EZNS0_15gpu_kernel_implIZZZNS0_12_GLOBAL__N_121bessel_j1_kernel_cudaERNS_18TensorIteratorBaseEENKUlvE_clEvENKUlvE0_clEvEUlfE_EEvS5_RKT_EUlibE0_EEviT1_,comdat
.Lfunc_end17:
	.size	_ZN2at6native32elementwise_kernel_manual_unrollILi128ELi4EZNS0_15gpu_kernel_implIZZZNS0_12_GLOBAL__N_121bessel_j1_kernel_cudaERNS_18TensorIteratorBaseEENKUlvE_clEvENKUlvE0_clEvEUlfE_EEvS5_RKT_EUlibE0_EEviT1_, .Lfunc_end17-_ZN2at6native32elementwise_kernel_manual_unrollILi128ELi4EZNS0_15gpu_kernel_implIZZZNS0_12_GLOBAL__N_121bessel_j1_kernel_cudaERNS_18TensorIteratorBaseEENKUlvE_clEvENKUlvE0_clEvEUlfE_EEvS5_RKT_EUlibE0_EEviT1_
                                        ; -- End function
	.section	.AMDGPU.csdata,"",@progbits
; Kernel info:
; codeLenInByte = 40772
; NumSgprs: 92
; NumVgprs: 60
; NumAgprs: 0
; TotalNumVgprs: 60
; ScratchSize: 16
; MemoryBound: 1
; FloatMode: 240
; IeeeMode: 1
; LDSByteSize: 0 bytes/workgroup (compile time only)
; SGPRBlocks: 11
; VGPRBlocks: 7
; NumSGPRsForWavesPerEU: 92
; NumVGPRsForWavesPerEU: 60
; AccumOffset: 60
; Occupancy: 8
; WaveLimiterHint : 1
; COMPUTE_PGM_RSRC2:SCRATCH_EN: 1
; COMPUTE_PGM_RSRC2:USER_SGPR: 8
; COMPUTE_PGM_RSRC2:TRAP_HANDLER: 0
; COMPUTE_PGM_RSRC2:TGID_X_EN: 1
; COMPUTE_PGM_RSRC2:TGID_Y_EN: 0
; COMPUTE_PGM_RSRC2:TGID_Z_EN: 0
; COMPUTE_PGM_RSRC2:TIDIG_COMP_CNT: 0
; COMPUTE_PGM_RSRC3_GFX90A:ACCUM_OFFSET: 14
; COMPUTE_PGM_RSRC3_GFX90A:TG_SPLIT: 0
	.text
	.p2alignl 6, 3212836864
	.fill 256, 4, 3212836864
	.type	__hip_cuid_823c5ed6f1c3fe86,@object ; @__hip_cuid_823c5ed6f1c3fe86
	.section	.bss,"aw",@nobits
	.globl	__hip_cuid_823c5ed6f1c3fe86
__hip_cuid_823c5ed6f1c3fe86:
	.byte	0                               ; 0x0
	.size	__hip_cuid_823c5ed6f1c3fe86, 1

	.ident	"AMD clang version 19.0.0git (https://github.com/RadeonOpenCompute/llvm-project roc-6.4.0 25133 c7fe45cf4b819c5991fe208aaa96edf142730f1d)"
	.section	".note.GNU-stack","",@progbits
	.addrsig
	.addrsig_sym __hip_cuid_823c5ed6f1c3fe86
	.amdgpu_metadata
---
amdhsa.kernels:
  - .agpr_count:     0
    .args:
      - .offset:         0
        .size:           4
        .value_kind:     by_value
      - .offset:         4
        .size:           1
        .value_kind:     by_value
      - .offset:         8
        .size:           16
        .value_kind:     by_value
    .group_segment_fixed_size: 0
    .kernarg_segment_align: 8
    .kernarg_segment_size: 24
    .language:       OpenCL C
    .language_version:
      - 2
      - 0
    .max_flat_workgroup_size: 256
    .name:           _ZN2at6native29vectorized_elementwise_kernelILi16EZZZNS0_12_GLOBAL__N_121bessel_j1_kernel_cudaERNS_18TensorIteratorBaseEENKUlvE_clEvENKUlvE_clEvEUldE_St5arrayIPcLm2EEEEviT0_T1_
    .private_segment_fixed_size: 16
    .sgpr_count:     54
    .sgpr_spill_count: 0
    .symbol:         _ZN2at6native29vectorized_elementwise_kernelILi16EZZZNS0_12_GLOBAL__N_121bessel_j1_kernel_cudaERNS_18TensorIteratorBaseEENKUlvE_clEvENKUlvE_clEvEUldE_St5arrayIPcLm2EEEEviT0_T1_.kd
    .uniform_work_group_size: 1
    .uses_dynamic_stack: true
    .vgpr_count:     75
    .vgpr_spill_count: 0
    .wavefront_size: 64
  - .agpr_count:     0
    .args:
      - .offset:         0
        .size:           4
        .value_kind:     by_value
      - .offset:         4
        .size:           1
        .value_kind:     by_value
      - .offset:         8
        .size:           16
        .value_kind:     by_value
    .group_segment_fixed_size: 0
    .kernarg_segment_align: 8
    .kernarg_segment_size: 24
    .language:       OpenCL C
    .language_version:
      - 2
      - 0
    .max_flat_workgroup_size: 256
    .name:           _ZN2at6native29vectorized_elementwise_kernelILi8EZZZNS0_12_GLOBAL__N_121bessel_j1_kernel_cudaERNS_18TensorIteratorBaseEENKUlvE_clEvENKUlvE_clEvEUldE_St5arrayIPcLm2EEEEviT0_T1_
    .private_segment_fixed_size: 16
    .sgpr_count:     54
    .sgpr_spill_count: 0
    .symbol:         _ZN2at6native29vectorized_elementwise_kernelILi8EZZZNS0_12_GLOBAL__N_121bessel_j1_kernel_cudaERNS_18TensorIteratorBaseEENKUlvE_clEvENKUlvE_clEvEUldE_St5arrayIPcLm2EEEEviT0_T1_.kd
    .uniform_work_group_size: 1
    .uses_dynamic_stack: true
    .vgpr_count:     75
    .vgpr_spill_count: 0
    .wavefront_size: 64
  - .agpr_count:     0
    .args:
      - .offset:         0
        .size:           4
        .value_kind:     by_value
      - .offset:         4
        .size:           1
        .value_kind:     by_value
      - .offset:         8
        .size:           16
        .value_kind:     by_value
    .group_segment_fixed_size: 0
    .kernarg_segment_align: 8
    .kernarg_segment_size: 24
    .language:       OpenCL C
    .language_version:
      - 2
      - 0
    .max_flat_workgroup_size: 256
    .name:           _ZN2at6native29vectorized_elementwise_kernelILi4EZZZNS0_12_GLOBAL__N_121bessel_j1_kernel_cudaERNS_18TensorIteratorBaseEENKUlvE_clEvENKUlvE_clEvEUldE_St5arrayIPcLm2EEEEviT0_T1_
    .private_segment_fixed_size: 16
    .sgpr_count:     54
    .sgpr_spill_count: 0
    .symbol:         _ZN2at6native29vectorized_elementwise_kernelILi4EZZZNS0_12_GLOBAL__N_121bessel_j1_kernel_cudaERNS_18TensorIteratorBaseEENKUlvE_clEvENKUlvE_clEvEUldE_St5arrayIPcLm2EEEEviT0_T1_.kd
    .uniform_work_group_size: 1
    .uses_dynamic_stack: true
    .vgpr_count:     75
    .vgpr_spill_count: 0
    .wavefront_size: 64
  - .agpr_count:     0
    .args:
      - .offset:         0
        .size:           4
        .value_kind:     by_value
      - .offset:         4
        .size:           1
        .value_kind:     by_value
      - .offset:         8
        .size:           16
        .value_kind:     by_value
    .group_segment_fixed_size: 0
    .kernarg_segment_align: 8
    .kernarg_segment_size: 24
    .language:       OpenCL C
    .language_version:
      - 2
      - 0
    .max_flat_workgroup_size: 256
    .name:           _ZN2at6native29vectorized_elementwise_kernelILi2EZZZNS0_12_GLOBAL__N_121bessel_j1_kernel_cudaERNS_18TensorIteratorBaseEENKUlvE_clEvENKUlvE_clEvEUldE_St5arrayIPcLm2EEEEviT0_T1_
    .private_segment_fixed_size: 16
    .sgpr_count:     54
    .sgpr_spill_count: 0
    .symbol:         _ZN2at6native29vectorized_elementwise_kernelILi2EZZZNS0_12_GLOBAL__N_121bessel_j1_kernel_cudaERNS_18TensorIteratorBaseEENKUlvE_clEvENKUlvE_clEvEUldE_St5arrayIPcLm2EEEEviT0_T1_.kd
    .uniform_work_group_size: 1
    .uses_dynamic_stack: true
    .vgpr_count:     75
    .vgpr_spill_count: 0
    .wavefront_size: 64
  - .agpr_count:     0
    .args:
      - .offset:         0
        .size:           4
        .value_kind:     by_value
      - .offset:         4
        .size:           1
        .value_kind:     by_value
      - .offset:         8
        .size:           16
        .value_kind:     by_value
      - .offset:         24
        .size:           1
        .value_kind:     by_value
      - .offset:         25
        .size:           1
        .value_kind:     by_value
      - .offset:         26
        .size:           1
        .value_kind:     by_value
      - .offset:         27
        .size:           1
        .value_kind:     by_value
    .group_segment_fixed_size: 0
    .kernarg_segment_align: 8
    .kernarg_segment_size: 28
    .language:       OpenCL C
    .language_version:
      - 2
      - 0
    .max_flat_workgroup_size: 256
    .name:           _ZN2at6native27unrolled_elementwise_kernelIZZZNS0_12_GLOBAL__N_121bessel_j1_kernel_cudaERNS_18TensorIteratorBaseEENKUlvE_clEvENKUlvE_clEvEUldE_St5arrayIPcLm2EELi4E23TrivialOffsetCalculatorILi1EjESC_NS0_6memory15LoadWithoutCastENSD_16StoreWithoutCastEEEviT_T0_T2_T3_T4_T5_
    .private_segment_fixed_size: 16
    .sgpr_count:     52
    .sgpr_spill_count: 0
    .symbol:         _ZN2at6native27unrolled_elementwise_kernelIZZZNS0_12_GLOBAL__N_121bessel_j1_kernel_cudaERNS_18TensorIteratorBaseEENKUlvE_clEvENKUlvE_clEvEUldE_St5arrayIPcLm2EELi4E23TrivialOffsetCalculatorILi1EjESC_NS0_6memory15LoadWithoutCastENSD_16StoreWithoutCastEEEviT_T0_T2_T3_T4_T5_.kd
    .uniform_work_group_size: 1
    .uses_dynamic_stack: true
    .vgpr_count:     75
    .vgpr_spill_count: 0
    .wavefront_size: 64
  - .agpr_count:     0
    .args:
      - .offset:         0
        .size:           4
        .value_kind:     by_value
      - .offset:         8
        .size:           352
        .value_kind:     by_value
    .group_segment_fixed_size: 0
    .kernarg_segment_align: 8
    .kernarg_segment_size: 360
    .language:       OpenCL C
    .language_version:
      - 2
      - 0
    .max_flat_workgroup_size: 128
    .name:           _ZN2at6native32elementwise_kernel_manual_unrollILi128ELi4EZNS0_22gpu_kernel_impl_nocastIZZZNS0_12_GLOBAL__N_121bessel_j1_kernel_cudaERNS_18TensorIteratorBaseEENKUlvE_clEvENKUlvE_clEvEUldE_EEvS5_RKT_EUlibE_EEviT1_
    .private_segment_fixed_size: 16
    .sgpr_count:     74
    .sgpr_spill_count: 0
    .symbol:         _ZN2at6native32elementwise_kernel_manual_unrollILi128ELi4EZNS0_22gpu_kernel_impl_nocastIZZZNS0_12_GLOBAL__N_121bessel_j1_kernel_cudaERNS_18TensorIteratorBaseEENKUlvE_clEvENKUlvE_clEvEUldE_EEvS5_RKT_EUlibE_EEviT1_.kd
    .uniform_work_group_size: 1
    .uses_dynamic_stack: true
    .vgpr_count:     74
    .vgpr_spill_count: 0
    .wavefront_size: 64
  - .agpr_count:     0
    .args:
      - .offset:         0
        .size:           4
        .value_kind:     by_value
      - .offset:         8
        .size:           32
        .value_kind:     by_value
    .group_segment_fixed_size: 0
    .kernarg_segment_align: 8
    .kernarg_segment_size: 40
    .language:       OpenCL C
    .language_version:
      - 2
      - 0
    .max_flat_workgroup_size: 128
    .name:           _ZN2at6native32elementwise_kernel_manual_unrollILi128ELi4EZNS0_15gpu_kernel_implIZZZNS0_12_GLOBAL__N_121bessel_j1_kernel_cudaERNS_18TensorIteratorBaseEENKUlvE_clEvENKUlvE_clEvEUldE_EEvS5_RKT_EUlibE_EEviT1_
    .private_segment_fixed_size: 16
    .sgpr_count:     69
    .sgpr_spill_count: 0
    .symbol:         _ZN2at6native32elementwise_kernel_manual_unrollILi128ELi4EZNS0_15gpu_kernel_implIZZZNS0_12_GLOBAL__N_121bessel_j1_kernel_cudaERNS_18TensorIteratorBaseEENKUlvE_clEvENKUlvE_clEvEUldE_EEvS5_RKT_EUlibE_EEviT1_.kd
    .uniform_work_group_size: 1
    .uses_dynamic_stack: true
    .vgpr_count:     58
    .vgpr_spill_count: 0
    .wavefront_size: 64
  - .agpr_count:     0
    .args:
      - .offset:         0
        .size:           4
        .value_kind:     by_value
      - .offset:         8
        .size:           352
        .value_kind:     by_value
    .group_segment_fixed_size: 0
    .kernarg_segment_align: 8
    .kernarg_segment_size: 360
    .language:       OpenCL C
    .language_version:
      - 2
      - 0
    .max_flat_workgroup_size: 128
    .name:           _ZN2at6native32elementwise_kernel_manual_unrollILi128ELi4EZNS0_15gpu_kernel_implIZZZNS0_12_GLOBAL__N_121bessel_j1_kernel_cudaERNS_18TensorIteratorBaseEENKUlvE_clEvENKUlvE_clEvEUldE_EEvS5_RKT_EUlibE0_EEviT1_
    .private_segment_fixed_size: 16
    .sgpr_count:     92
    .sgpr_spill_count: 0
    .symbol:         _ZN2at6native32elementwise_kernel_manual_unrollILi128ELi4EZNS0_15gpu_kernel_implIZZZNS0_12_GLOBAL__N_121bessel_j1_kernel_cudaERNS_18TensorIteratorBaseEENKUlvE_clEvENKUlvE_clEvEUldE_EEvS5_RKT_EUlibE0_EEviT1_.kd
    .uniform_work_group_size: 1
    .uses_dynamic_stack: true
    .vgpr_count:     64
    .vgpr_spill_count: 0
    .wavefront_size: 64
  - .agpr_count:     0
    .args:
      - .offset:         0
        .size:           4
        .value_kind:     by_value
      - .offset:         4
        .size:           1
        .value_kind:     by_value
      - .offset:         8
        .size:           16
        .value_kind:     by_value
    .group_segment_fixed_size: 0
    .kernarg_segment_align: 8
    .kernarg_segment_size: 24
    .language:       OpenCL C
    .language_version:
      - 2
      - 0
    .max_flat_workgroup_size: 256
    .name:           _ZN2at6native29vectorized_elementwise_kernelILi16EZZZNS0_12_GLOBAL__N_121bessel_j1_kernel_cudaERNS_18TensorIteratorBaseEENKUlvE_clEvENKUlvE0_clEvEUlfE_St5arrayIPcLm2EEEEviT0_T1_
    .private_segment_fixed_size: 16
    .sgpr_count:     54
    .sgpr_spill_count: 0
    .symbol:         _ZN2at6native29vectorized_elementwise_kernelILi16EZZZNS0_12_GLOBAL__N_121bessel_j1_kernel_cudaERNS_18TensorIteratorBaseEENKUlvE_clEvENKUlvE0_clEvEUlfE_St5arrayIPcLm2EEEEviT0_T1_.kd
    .uniform_work_group_size: 1
    .uses_dynamic_stack: true
    .vgpr_count:     60
    .vgpr_spill_count: 0
    .wavefront_size: 64
  - .agpr_count:     0
    .args:
      - .offset:         0
        .size:           4
        .value_kind:     by_value
      - .offset:         4
        .size:           1
        .value_kind:     by_value
      - .offset:         8
        .size:           16
        .value_kind:     by_value
    .group_segment_fixed_size: 0
    .kernarg_segment_align: 8
    .kernarg_segment_size: 24
    .language:       OpenCL C
    .language_version:
      - 2
      - 0
    .max_flat_workgroup_size: 256
    .name:           _ZN2at6native29vectorized_elementwise_kernelILi8EZZZNS0_12_GLOBAL__N_121bessel_j1_kernel_cudaERNS_18TensorIteratorBaseEENKUlvE_clEvENKUlvE0_clEvEUlfE_St5arrayIPcLm2EEEEviT0_T1_
    .private_segment_fixed_size: 16
    .sgpr_count:     54
    .sgpr_spill_count: 0
    .symbol:         _ZN2at6native29vectorized_elementwise_kernelILi8EZZZNS0_12_GLOBAL__N_121bessel_j1_kernel_cudaERNS_18TensorIteratorBaseEENKUlvE_clEvENKUlvE0_clEvEUlfE_St5arrayIPcLm2EEEEviT0_T1_.kd
    .uniform_work_group_size: 1
    .uses_dynamic_stack: true
    .vgpr_count:     60
    .vgpr_spill_count: 0
    .wavefront_size: 64
  - .agpr_count:     0
    .args:
      - .offset:         0
        .size:           4
        .value_kind:     by_value
      - .offset:         4
        .size:           1
        .value_kind:     by_value
      - .offset:         8
        .size:           16
        .value_kind:     by_value
    .group_segment_fixed_size: 0
    .kernarg_segment_align: 8
    .kernarg_segment_size: 24
    .language:       OpenCL C
    .language_version:
      - 2
      - 0
    .max_flat_workgroup_size: 256
    .name:           _ZN2at6native29vectorized_elementwise_kernelILi4EZZZNS0_12_GLOBAL__N_121bessel_j1_kernel_cudaERNS_18TensorIteratorBaseEENKUlvE_clEvENKUlvE0_clEvEUlfE_St5arrayIPcLm2EEEEviT0_T1_
    .private_segment_fixed_size: 16
    .sgpr_count:     54
    .sgpr_spill_count: 0
    .symbol:         _ZN2at6native29vectorized_elementwise_kernelILi4EZZZNS0_12_GLOBAL__N_121bessel_j1_kernel_cudaERNS_18TensorIteratorBaseEENKUlvE_clEvENKUlvE0_clEvEUlfE_St5arrayIPcLm2EEEEviT0_T1_.kd
    .uniform_work_group_size: 1
    .uses_dynamic_stack: true
    .vgpr_count:     60
    .vgpr_spill_count: 0
    .wavefront_size: 64
  - .agpr_count:     0
    .args:
      - .offset:         0
        .size:           4
        .value_kind:     by_value
      - .offset:         4
        .size:           1
        .value_kind:     by_value
      - .offset:         8
        .size:           16
        .value_kind:     by_value
    .group_segment_fixed_size: 0
    .kernarg_segment_align: 8
    .kernarg_segment_size: 24
    .language:       OpenCL C
    .language_version:
      - 2
      - 0
    .max_flat_workgroup_size: 256
    .name:           _ZN2at6native29vectorized_elementwise_kernelILi2EZZZNS0_12_GLOBAL__N_121bessel_j1_kernel_cudaERNS_18TensorIteratorBaseEENKUlvE_clEvENKUlvE0_clEvEUlfE_St5arrayIPcLm2EEEEviT0_T1_
    .private_segment_fixed_size: 16
    .sgpr_count:     54
    .sgpr_spill_count: 0
    .symbol:         _ZN2at6native29vectorized_elementwise_kernelILi2EZZZNS0_12_GLOBAL__N_121bessel_j1_kernel_cudaERNS_18TensorIteratorBaseEENKUlvE_clEvENKUlvE0_clEvEUlfE_St5arrayIPcLm2EEEEviT0_T1_.kd
    .uniform_work_group_size: 1
    .uses_dynamic_stack: true
    .vgpr_count:     60
    .vgpr_spill_count: 0
    .wavefront_size: 64
  - .agpr_count:     0
    .args:
      - .offset:         0
        .size:           4
        .value_kind:     by_value
      - .offset:         4
        .size:           1
        .value_kind:     by_value
      - .offset:         8
        .size:           16
        .value_kind:     by_value
      - .offset:         24
        .size:           1
        .value_kind:     by_value
      - .offset:         25
        .size:           1
        .value_kind:     by_value
      - .offset:         26
        .size:           1
        .value_kind:     by_value
      - .offset:         27
        .size:           1
        .value_kind:     by_value
    .group_segment_fixed_size: 0
    .kernarg_segment_align: 8
    .kernarg_segment_size: 28
    .language:       OpenCL C
    .language_version:
      - 2
      - 0
    .max_flat_workgroup_size: 256
    .name:           _ZN2at6native27unrolled_elementwise_kernelIZZZNS0_12_GLOBAL__N_121bessel_j1_kernel_cudaERNS_18TensorIteratorBaseEENKUlvE_clEvENKUlvE0_clEvEUlfE_St5arrayIPcLm2EELi4E23TrivialOffsetCalculatorILi1EjESC_NS0_6memory15LoadWithoutCastENSD_16StoreWithoutCastEEEviT_T0_T2_T3_T4_T5_
    .private_segment_fixed_size: 16
    .sgpr_count:     52
    .sgpr_spill_count: 0
    .symbol:         _ZN2at6native27unrolled_elementwise_kernelIZZZNS0_12_GLOBAL__N_121bessel_j1_kernel_cudaERNS_18TensorIteratorBaseEENKUlvE_clEvENKUlvE0_clEvEUlfE_St5arrayIPcLm2EELi4E23TrivialOffsetCalculatorILi1EjESC_NS0_6memory15LoadWithoutCastENSD_16StoreWithoutCastEEEviT_T0_T2_T3_T4_T5_.kd
    .uniform_work_group_size: 1
    .uses_dynamic_stack: true
    .vgpr_count:     60
    .vgpr_spill_count: 0
    .wavefront_size: 64
  - .agpr_count:     0
    .args:
      - .offset:         0
        .size:           4
        .value_kind:     by_value
      - .offset:         8
        .size:           352
        .value_kind:     by_value
    .group_segment_fixed_size: 0
    .kernarg_segment_align: 8
    .kernarg_segment_size: 360
    .language:       OpenCL C
    .language_version:
      - 2
      - 0
    .max_flat_workgroup_size: 128
    .name:           _ZN2at6native32elementwise_kernel_manual_unrollILi128ELi4EZNS0_22gpu_kernel_impl_nocastIZZZNS0_12_GLOBAL__N_121bessel_j1_kernel_cudaERNS_18TensorIteratorBaseEENKUlvE_clEvENKUlvE0_clEvEUlfE_EEvS5_RKT_EUlibE_EEviT1_
    .private_segment_fixed_size: 16
    .sgpr_count:     74
    .sgpr_spill_count: 0
    .symbol:         _ZN2at6native32elementwise_kernel_manual_unrollILi128ELi4EZNS0_22gpu_kernel_impl_nocastIZZZNS0_12_GLOBAL__N_121bessel_j1_kernel_cudaERNS_18TensorIteratorBaseEENKUlvE_clEvENKUlvE0_clEvEUlfE_EEvS5_RKT_EUlibE_EEviT1_.kd
    .uniform_work_group_size: 1
    .uses_dynamic_stack: true
    .vgpr_count:     64
    .vgpr_spill_count: 0
    .wavefront_size: 64
  - .agpr_count:     0
    .args:
      - .offset:         0
        .size:           4
        .value_kind:     by_value
      - .offset:         8
        .size:           32
        .value_kind:     by_value
    .group_segment_fixed_size: 0
    .kernarg_segment_align: 8
    .kernarg_segment_size: 40
    .language:       OpenCL C
    .language_version:
      - 2
      - 0
    .max_flat_workgroup_size: 128
    .name:           _ZN2at6native32elementwise_kernel_manual_unrollILi128ELi4EZNS0_15gpu_kernel_implIZZZNS0_12_GLOBAL__N_121bessel_j1_kernel_cudaERNS_18TensorIteratorBaseEENKUlvE_clEvENKUlvE0_clEvEUlfE_EEvS5_RKT_EUlibE_EEviT1_
    .private_segment_fixed_size: 16
    .sgpr_count:     69
    .sgpr_spill_count: 0
    .symbol:         _ZN2at6native32elementwise_kernel_manual_unrollILi128ELi4EZNS0_15gpu_kernel_implIZZZNS0_12_GLOBAL__N_121bessel_j1_kernel_cudaERNS_18TensorIteratorBaseEENKUlvE_clEvENKUlvE0_clEvEUlfE_EEvS5_RKT_EUlibE_EEviT1_.kd
    .uniform_work_group_size: 1
    .uses_dynamic_stack: true
    .vgpr_count:     47
    .vgpr_spill_count: 0
    .wavefront_size: 64
  - .agpr_count:     0
    .args:
      - .offset:         0
        .size:           4
        .value_kind:     by_value
      - .offset:         8
        .size:           352
        .value_kind:     by_value
    .group_segment_fixed_size: 0
    .kernarg_segment_align: 8
    .kernarg_segment_size: 360
    .language:       OpenCL C
    .language_version:
      - 2
      - 0
    .max_flat_workgroup_size: 128
    .name:           _ZN2at6native32elementwise_kernel_manual_unrollILi128ELi4EZNS0_15gpu_kernel_implIZZZNS0_12_GLOBAL__N_121bessel_j1_kernel_cudaERNS_18TensorIteratorBaseEENKUlvE_clEvENKUlvE0_clEvEUlfE_EEvS5_RKT_EUlibE0_EEviT1_
    .private_segment_fixed_size: 16
    .sgpr_count:     92
    .sgpr_spill_count: 0
    .symbol:         _ZN2at6native32elementwise_kernel_manual_unrollILi128ELi4EZNS0_15gpu_kernel_implIZZZNS0_12_GLOBAL__N_121bessel_j1_kernel_cudaERNS_18TensorIteratorBaseEENKUlvE_clEvENKUlvE0_clEvEUlfE_EEvS5_RKT_EUlibE0_EEviT1_.kd
    .uniform_work_group_size: 1
    .uses_dynamic_stack: true
    .vgpr_count:     60
    .vgpr_spill_count: 0
    .wavefront_size: 64
amdhsa.target:   amdgcn-amd-amdhsa--gfx90a
amdhsa.version:
  - 1
  - 2
...

	.end_amdgpu_metadata
